;; amdgpu-corpus repo=ROCm/aiter kind=harvested arch=n/a opt=n/a

/root/src/amdgpu-assembly/repos/ROCm__aiter/hsa/gfx942/fmoe/gelu/fmoe_bf16_blockscaleFp8_g1u1_novs_gelu_1tg_ps_32x256.co:	file format elf64-amdgpu

Disassembly of section .text:

0000000000002e00 <_ZN5aiter52fmoe_bf16_blockscaleFp8_g1u1_novs_gelu_1tg_ps_32x256E>:
	v_lshrrev_b32_e32 v1, 10, v0                               // 000000002E00: 2002008A
	v_lshrrev_b32_e32 v2, 10, v1                               // 000000002E04: 2004028A
	v_and_b32_e32 v2, 0x3ff, v2                                // 000000002E08: 260404FF 000003FF
	v_and_b32_e32 v1, 0x3ff, v1                                // 000000002E10: 260202FF 000003FF
	v_and_b32_e32 v0, 0x3ff, v0                                // 000000002E18: 260000FF 000003FF
	v_lshrrev_b32_e32 v3, 6, v0                                // 000000002E20: 20060086
	v_and_b32_e32 v0, 63, v0                                   // 000000002E24: 260000BF
	s_mov_b32 s2, s2                                           // 000000002E28: BE820002
	s_mov_b32 s3, s3                                           // 000000002E2C: BE830003
	s_mov_b32 s4, s4                                           // 000000002E30: BE840004
	s_mov_b32 s99, s2                                          // 000000002E34: BEE30002
	v_readfirstlane_b32 s7, v3                                 // 000000002E38: 7E0E0503
	s_and_b32 s1, s1, 0xffff                                   // 000000002E3C: 8601FF01 0000FFFF
	s_mov_b32 s96, 0                                           // 000000002E44: BEE00080
	s_mov_b32 s97, 0                                           // 000000002E48: BEE10080
	s_mov_b32 s100, 0                                          // 000000002E4C: BEE40080
	s_load_dword s96, s[0:1], 0x1a0                            // 000000002E50: C0021800 000001A0
	s_load_dword s97, s[0:1], 0x1b0                            // 000000002E58: C0021840 000001B0
	s_waitcnt lgkmcnt(0)                                       // 000000002E60: BF8CC07F
	s_cmp_eq_u32 s96, 0                                        // 000000002E64: BF068060
	s_cbranch_scc1 label_005C                                  // 000000002E68: BF850041
	v_cvt_f32_u32_e32 v56, s97                                 // 000000002E6C: 7E700C61
	s_sub_i32 s60, 0, s97                                      // 000000002E70: 81BC6180
	v_rcp_iflag_f32_e32 v56, v56                               // 000000002E74: 7E704738
	s_nop 0                                                    // 000000002E78: BF800000
	v_mul_f32_e32 v56, 0x4f7ffffe, v56                         // 000000002E7C: 0A7070FF 4F7FFFFE
	v_cvt_u32_f32_e32 v56, v56                                 // 000000002E84: 7E700F38
	v_mul_lo_u32 v57, s60, v56                                 // 000000002E88: D2850039 0002703C
	v_mul_hi_u32 v57, v56, v57                                 // 000000002E90: D2860039 00027338
	v_add_u32_e32 v56, v56, v57                                // 000000002E98: 68707338
	v_mul_hi_u32 v56, s96, v56                                 // 000000002E9C: D2860038 00027060
	v_mul_lo_u32 v57, v56, s97                                 // 000000002EA4: D2850039 0000C338
	v_sub_u32_e32 v59, s96, v57                                // 000000002EAC: 6A767260
	v_add_u32_e32 v58, 1, v56                                  // 000000002EB0: 68747081
	v_cmp_le_u32_e32 vcc, s97, v59                             // 000000002EB4: 7D967661
	v_subrev_u32_e32 v57, s97, v59                             // 000000002EB8: 6C727661
	s_nop 0                                                    // 000000002EBC: BF800000
	v_cndmask_b32_e32 v56, v56, v58, vcc                       // 000000002EC0: 00707538
	v_cndmask_b32_e32 v59, v59, v57, vcc                       // 000000002EC4: 0076733B
	v_add_u32_e32 v57, 1, v56                                  // 000000002EC8: 68727081
	v_cmp_le_u32_e32 vcc, s97, v59                             // 000000002ECC: 7D967661
	s_nop 1                                                    // 000000002ED0: BF800001
	v_cndmask_b32_e32 v59, v56, v57, vcc                       // 000000002ED4: 00767338
	s_nop 3                                                    // 000000002ED8: BF800003
	v_readfirstlane_b32 s98, v59                               // 000000002EDC: 7EC4053B
	s_nop 3                                                    // 000000002EE0: BF800003

0000000000002ee4 <label_0039>:
	s_mov_b32 s4, 1                                            // 000000002EE4: BE840081
	v_cvt_f32_u32_e32 v56, s97                                 // 000000002EE8: 7E700C61
	s_sub_i32 s60, 0, s97                                      // 000000002EEC: 81BC6180
	v_rcp_iflag_f32_e32 v56, v56                               // 000000002EF0: 7E704738
	s_nop 0                                                    // 000000002EF4: BF800000
	v_mul_f32_e32 v56, 0x4f7ffffe, v56                         // 000000002EF8: 0A7070FF 4F7FFFFE
	v_cvt_u32_f32_e32 v56, v56                                 // 000000002F00: 7E700F38
	v_mul_lo_u32 v57, s60, v56                                 // 000000002F04: D2850039 0002703C
	v_mul_hi_u32 v57, v56, v57                                 // 000000002F0C: D2860039 00027338
	v_add_u32_e32 v56, v56, v57                                // 000000002F14: 68707338
	v_mul_hi_u32 v56, s99, v56                                 // 000000002F18: D2860038 00027063
	v_mul_lo_u32 v57, v56, s97                                 // 000000002F20: D2850039 0000C338
	v_sub_u32_e32 v59, s99, v57                                // 000000002F28: 6A767263
	v_add_u32_e32 v58, 1, v56                                  // 000000002F2C: 68747081
	v_cmp_le_u32_e32 vcc, s97, v59                             // 000000002F30: 7D967661
	v_subrev_u32_e32 v57, s97, v59                             // 000000002F34: 6C727661
	s_nop 0                                                    // 000000002F38: BF800000
	v_cndmask_b32_e32 v56, v56, v58, vcc                       // 000000002F3C: 00707538
	v_cndmask_b32_e32 v59, v59, v57, vcc                       // 000000002F40: 0076733B
	v_add_u32_e32 v57, 1, v56                                  // 000000002F44: 68727081
	v_cmp_le_u32_e32 vcc, s97, v59                             // 000000002F48: 7D967661
	s_nop 1                                                    // 000000002F4C: BF800001
	v_cndmask_b32_e32 v59, v56, v57, vcc                       // 000000002F50: 00767338
	s_nop 3                                                    // 000000002F54: BF800003
	v_readfirstlane_b32 s3, v59                                // 000000002F58: 7E06053B
	s_nop 3                                                    // 000000002F5C: BF800003
	s_mul_i32 s60, s3, s97                                     // 000000002F60: 923C6103
	s_sub_u32 s2, s99, s60                                     // 000000002F64: 80823C63
	s_mul_i32 s60, s98, s100                                   // 000000002F68: 923C6462
	s_add_i32 s3, s3, s60                                      // 000000002F6C: 81033C03

0000000000002f70 <label_005C>:
	s_and_b32 s1, s1, 0xffff                                   // 000000002F70: 8601FF01 0000FFFF
	s_load_dwordx2 s[8:9], s[0:1], 0x0                         // 000000002F78: C0060200 00000000
	s_load_dwordx2 s[20:21], s[0:1], 0x10                      // 000000002F80: C0060500 00000010
	s_load_dwordx2 s[24:25], s[0:1], 0x20                      // 000000002F88: C0060600 00000020
	s_load_dwordx2 s[50:51], s[0:1], 0x30                      // 000000002F90: C0060C80 00000030
	s_load_dwordx2 s[12:13], s[0:1], 0x40                      // 000000002F98: C0060300 00000040
	s_load_dwordx2 s[28:29], s[0:1], 0x50                      // 000000002FA0: C0060700 00000050
	s_load_dwordx2 s[32:33], s[0:1], 0x60                      // 000000002FA8: C0060800 00000060
	s_load_dwordx2 s[16:17], s[0:1], 0x70                      // 000000002FB0: C0060400 00000070
	s_load_dwordx2 s[36:37], s[0:1], 0x80                      // 000000002FB8: C0060900 00000080
	s_load_dwordx2 s[44:45], s[0:1], 0x90                      // 000000002FC0: C0060B00 00000090
	s_load_dwordx2 s[40:41], s[0:1], 0xa0                      // 000000002FC8: C0060A00 000000A0
	s_load_dwordx2 s[46:47], s[0:1], 0xb0                      // 000000002FD0: C0060B80 000000B0
	s_load_dword s64, s[0:1], 0xc0                             // 000000002FD8: C0021000 000000C0
	s_load_dword s65, s[0:1], 0xd0                             // 000000002FE0: C0021040 000000D0
	s_load_dword s67, s[0:1], 0xf0                             // 000000002FE8: C00210C0 000000F0
	s_load_dword s68, s[0:1], 0x100                            // 000000002FF0: C0021100 00000100
	s_load_dword s69, s[0:1], 0x110                            // 000000002FF8: C0021140 00000110
	s_load_dword s70, s[0:1], 0x120                            // 000000003000: C0021180 00000120
	s_load_dword s71, s[0:1], 0x130                            // 000000003008: C00211C0 00000130
	s_load_dword s72, s[0:1], 0x140                            // 000000003010: C0021200 00000140
	s_load_dword s73, s[0:1], 0x150                            // 000000003018: C0021240 00000150
	s_load_dword s74, s[0:1], 0x160                            // 000000003020: C0021280 00000160
	s_load_dword s75, s[0:1], 0x170                            // 000000003028: C00212C0 00000170
	s_load_dword s76, s[0:1], 0x180                            // 000000003030: C0021300 00000180
	s_mov_b32 s2, s2                                           // 000000003038: BE820002
	s_mov_b32 s3, s3                                           // 00000000303C: BE830003
	s_mov_b32 s4, s4                                           // 000000003040: BE840004
	s_waitcnt lgkmcnt(0)                                       // 000000003044: BF8CC07F
	s_and_b32 s51, s51, 0xffff                                 // 000000003048: 8633FF33 0000FFFF
	s_load_dword s66, s[50:51], 0x4                            // 000000003050: C0021099 00000004
	s_load_dword s50, s[50:51], 0x0                            // 000000003058: C0020C99 00000000
	s_waitcnt lgkmcnt(0)                                       // 000000003060: BF8CC07F
	s_and_b32 s45, s45, 0xffff                                 // 000000003064: 862DFF2D 0000FFFF
	s_and_b32 s47, s47, 0xffff                                 // 00000000306C: 862FFF2F 0000FFFF
	s_and_b32 s9, s9, 0xffff                                   // 000000003074: 8609FF09 0000FFFF
	s_mul_i32 s60, s66, s68                                    // 00000000307C: 923C4442
	s_mul_i32 s61, s66, 4                                      // 000000003080: 923D8442
	s_mov_b32 s22, s60                                         // 000000003084: BE96003C
	s_mov_b32 s26, -16                                         // 000000003088: BE9A00D0
	s_mov_b32 s14, -16                                         // 00000000308C: BE8E00D0
	s_mov_b32 s42, -16                                         // 000000003090: BEAA00D0
	s_mov_b32 s30, -16                                         // 000000003094: BE9E00D0
	s_mov_b32 s34, -16                                         // 000000003098: BEA200D0
	s_mov_b32 s38, -16                                         // 00000000309C: BEA600D0
	s_mov_b32 s18, -16                                         // 0000000030A0: BE9200D0
	s_mov_b32 s23, 0x20000                                     // 0000000030A4: BE9700FF 00020000
	s_mov_b32 s27, 0x20000                                     // 0000000030AC: BE9B00FF 00020000
	s_mov_b32 s15, 0x20000                                     // 0000000030B4: BE8F00FF 00020000
	s_mov_b32 s43, 0x20000                                     // 0000000030BC: BEAB00FF 00020000
	s_mov_b32 s31, 0x20000                                     // 0000000030C4: BE9F00FF 00020000
	s_mov_b32 s35, 0x20000                                     // 0000000030CC: BEA300FF 00020000
	s_mov_b32 s39, 0x20000                                     // 0000000030D4: BEA700FF 00020000
	s_mov_b32 s19, 0x20000                                     // 0000000030DC: BE9300FF 00020000
	s_and_b32 s21, s21, 0xffff                                 // 0000000030E4: 8615FF15 0000FFFF
	s_and_b32 s25, s25, 0xffff                                 // 0000000030EC: 8619FF19 0000FFFF
	s_and_b32 s13, s13, 0xffff                                 // 0000000030F4: 860DFF0D 0000FFFF
	s_and_b32 s41, s41, 0xffff                                 // 0000000030FC: 8629FF29 0000FFFF
	s_and_b32 s29, s29, 0xffff                                 // 000000003104: 861DFF1D 0000FFFF
	s_and_b32 s33, s33, 0xffff                                 // 00000000310C: 8621FF21 0000FFFF
	s_and_b32 s37, s37, 0xffff                                 // 000000003114: 8625FF25 0000FFFF
	s_and_b32 s17, s17, 0xffff                                 // 00000000311C: 8611FF11 0000FFFF
	s_or_b32 s21, s21, 0x40000                                 // 000000003124: 8715FF15 00040000
	s_or_b32 s25, s25, 0x40000                                 // 00000000312C: 8719FF19 00040000
	s_or_b32 s13, s13, 0x40000                                 // 000000003134: 870DFF0D 00040000
	s_or_b32 s41, s41, 0x40000                                 // 00000000313C: 8729FF29 00040000
	s_or_b32 s29, s29, 0x40000                                 // 000000003144: 871DFF1D 00040000
	s_or_b32 s33, s33, 0x40000                                 // 00000000314C: 8721FF21 00040000
	s_or_b32 s37, s37, 0x40000                                 // 000000003154: 8725FF25 00040000
	s_or_b32 s17, s17, 0x40000                                 // 00000000315C: 8711FF11 00040000
	v_accvgpr_write_b32 a127, 0                                // 000000003164: D3D9407F 18000080
	v_mov_b32_e32 v255, 0                                      // 00000000316C: 7FFE0280
	s_waitcnt lgkmcnt(0)                                       // 000000003170: BF8CC07F
	s_mul_i32 s60, s3, 32                                      // 000000003174: 923CA003
	s_cmp_lt_i32 s60, s50                                      // 000000003178: BF04323C
	s_cbranch_scc0 label_1E93                                  // 00000000317C: BF841DB3
	s_mov_b32 s80, 0                                           // 000000003180: BED00080
	s_mov_b32 s81, s64                                         // 000000003184: BED10040
	s_mul_i32 s60, s3, 4                                       // 000000003188: 923C8403
	s_add_u32 s46, s60, s46                                    // 00000000318C: 802E2E3C
	s_addc_u32 s47, 0, s47                                     // 000000003190: 822F2F80
	s_load_dword s5, s[46:47], 0x0                             // 000000003194: C0020157 00000000
	s_mul_i32 s60, s3, 32                                      // 00000000319C: 923CA003
	s_mul_i32 s60, 4, s60                                      // 0000000031A0: 923C3C84
	v_and_b32_e32 v56, 15, v0                                  // 0000000031A4: 2670008F
	v_lshlrev_b32_e32 v56, 2, v56                              // 0000000031A8: 24707082
	v_add_u32_e32 v56, s60, v56                                // 0000000031AC: 6870703C
	v_mov_b32_e32 v57, 0                                       // 0000000031B0: 7E720280
	global_load_dword v7, v56, s[44:45]                        // 0000000031B4: DC508000 072C0038
	v_add_u32_e32 v56, 64, v56                                 // 0000000031BC: 687070C0
	global_load_dword v8, v56, s[44:45]                        // 0000000031C0: DC508000 082C0038
	s_mul_i32 s60, s3, 32                                      // 0000000031C8: 923CA003
	s_add_u32 s60, s7, s60                                     // 0000000031CC: 803C3C07
	s_mul_i32 s60, 4, s60                                      // 0000000031D0: 923C3C84
	s_add_u32 s44, s60, s44                                    // 0000000031D4: 802C2C3C
	s_addc_u32 s45, 0, s45                                     // 0000000031D8: 822D2D80
	s_load_dword s82, s[44:45], 0x0                            // 0000000031DC: C0021496 00000000
	s_load_dword s83, s[44:45], 0x10                           // 0000000031E4: C00214D6 00000010
	s_load_dword s84, s[44:45], 0x20                           // 0000000031EC: C0021516 00000020
	s_load_dword s85, s[44:45], 0x30                           // 0000000031F4: C0021556 00000030
	s_load_dword s86, s[44:45], 0x40                           // 0000000031FC: C0021596 00000040
	s_load_dword s87, s[44:45], 0x50                           // 000000003204: C00215D6 00000050
	s_load_dword s88, s[44:45], 0x60                           // 00000000320C: C0021616 00000060
	s_load_dword s89, s[44:45], 0x70                           // 000000003214: C0021656 00000070
	s_waitcnt lgkmcnt(0)                                       // 00000000321C: BF8CC07F
	v_lshlrev_b32_e32 v56, 2, v0                               // 000000003220: 24700082
	s_and_b32 s82, s82, 0xffffff                               // 000000003224: 8652FF52 00FFFFFF
	s_mul_i32 s60, s82, s68                                    // 00000000322C: 923C4452
	v_add_u32_e64 v36, v56, s60                                // 000000003230: D1340024 00007938
	s_and_b32 s83, s83, 0xffffff                               // 000000003238: 8653FF53 00FFFFFF
	s_mul_i32 s60, s83, s68                                    // 000000003240: 923C4453
	v_add_u32_e64 v37, v56, s60                                // 000000003244: D1340025 00007938
	s_and_b32 s84, s84, 0xffffff                               // 00000000324C: 8654FF54 00FFFFFF
	s_mul_i32 s60, s84, s68                                    // 000000003254: 923C4454
	v_add_u32_e64 v38, v56, s60                                // 000000003258: D1340026 00007938
	s_and_b32 s85, s85, 0xffffff                               // 000000003260: 8655FF55 00FFFFFF
	s_mul_i32 s60, s85, s68                                    // 000000003268: 923C4455
	v_add_u32_e64 v39, v56, s60                                // 00000000326C: D1340027 00007938
	s_and_b32 s86, s86, 0xffffff                               // 000000003274: 8656FF56 00FFFFFF
	s_mul_i32 s60, s86, s68                                    // 00000000327C: 923C4456
	v_add_u32_e64 v40, v56, s60                                // 000000003280: D1340028 00007938
	s_and_b32 s87, s87, 0xffffff                               // 000000003288: 8657FF57 00FFFFFF
	s_mul_i32 s60, s87, s68                                    // 000000003290: 923C4457
	v_add_u32_e64 v41, v56, s60                                // 000000003294: D1340029 00007938
	s_and_b32 s88, s88, 0xffffff                               // 00000000329C: 8658FF58 00FFFFFF
	s_mul_i32 s60, s88, s68                                    // 0000000032A4: 923C4458
	v_add_u32_e64 v42, v56, s60                                // 0000000032A8: D134002A 00007938
	s_and_b32 s89, s89, 0xffffff                               // 0000000032B0: 8659FF59 00FFFFFF
	s_mul_i32 s60, s89, s68                                    // 0000000032B8: 923C4459
	v_add_u32_e64 v43, v56, s60                                // 0000000032BC: D134002B 00007938
	v_lshlrev_b32_e32 v56, 2, v0                               // 0000000032C4: 24700082
	s_mul_i32 s60, s82, s71                                    // 0000000032C8: 923C4752
	v_add_u32_e64 v80, v56, s60                                // 0000000032CC: D1340050 00007938
	v_mov_b32_e32 v81, 0                                       // 0000000032D4: 7EA20280
	s_mul_i32 s60, s83, s71                                    // 0000000032D8: 923C4753
	v_add_u32_e64 v82, v56, s60                                // 0000000032DC: D1340052 00007938
	v_mov_b32_e32 v83, 0                                       // 0000000032E4: 7EA60280
	s_mul_i32 s60, s84, s71                                    // 0000000032E8: 923C4754
	v_add_u32_e64 v84, v56, s60                                // 0000000032EC: D1340054 00007938
	v_mov_b32_e32 v85, 0                                       // 0000000032F4: 7EAA0280
	s_mul_i32 s60, s85, s71                                    // 0000000032F8: 923C4755
	v_add_u32_e64 v86, v56, s60                                // 0000000032FC: D1340056 00007938
	v_mov_b32_e32 v87, 0                                       // 000000003304: 7EAE0280
	s_mul_i32 s60, s86, s71                                    // 000000003308: 923C4756
	v_add_u32_e64 v88, v56, s60                                // 00000000330C: D1340058 00007938
	v_mov_b32_e32 v89, 0                                       // 000000003314: 7EB20280
	s_mul_i32 s60, s87, s71                                    // 000000003318: 923C4757
	v_add_u32_e64 v90, v56, s60                                // 00000000331C: D134005A 00007938
	v_mov_b32_e32 v91, 0                                       // 000000003324: 7EB60280
	s_mul_i32 s60, s88, s71                                    // 000000003328: 923C4758
	v_add_u32_e64 v92, v56, s60                                // 00000000332C: D134005C 00007938
	v_mov_b32_e32 v93, 0                                       // 000000003334: 7EBA0280
	s_mul_i32 s60, s89, s71                                    // 000000003338: 923C4759
	v_add_u32_e64 v94, v56, s60                                // 00000000333C: D134005E 00007938
	v_mov_b32_e32 v95, 0                                       // 000000003344: 7EBE0280
	s_mul_i32 s60, s7, 0x820                                   // 000000003348: 923CFF07 00000820
	s_add_u32 s50, 0, s60                                      // 000000003350: 80323C80
	s_add_u32 s51, 0x2480, s50                                 // 000000003354: 803332FF 00002480
	v_lshrrev_b32_e32 v56, 4, v0                               // 00000000335C: 20700084
	v_lshlrev_b32_e32 v57, 2, v56                              // 000000003360: 24727082
	v_and_b32_e32 v56, 15, v0                                  // 000000003364: 2670008F
	v_lshrrev_b32_e32 v58, 2, v56                              // 000000003368: 20747082
	v_lshlrev_b32_e32 v58, 6, v58                              // 00000000336C: 24747486
	v_add_u32_e32 v57, v58, v57                                // 000000003370: 6872733A
	v_and_b32_e32 v56, 3, v0                                   // 000000003374: 26700083
	v_mul_i32_i24_e32 v58, 0x208, v56                          // 000000003378: 0C7470FF 00000208
	v_add_u32_e32 v57, v58, v57                                // 000000003380: 6872733A
	v_lshlrev_b32_e32 v2, 2, v57                               // 000000003384: 24047282
	s_mul_i32 s60, s2, 0x100                                   // 000000003388: 923CFF02 00000100
	s_mul_i32 s60, s60, s69                                    // 000000003390: 923C453C
	s_mul_i32 s61, s5, s72                                     // 000000003394: 923D4805
	s_add_u32 s60, s61, s60                                    // 000000003398: 803C3C3D
	s_add_u32 s24, s60, s24                                    // 00000000339C: 8018183C
	s_addc_u32 s25, 0, s25                                     // 0000000033A0: 82191980
	s_mul_i32 s60, s7, 16                                      // 0000000033A4: 923C9007
	s_mul_i32 s60, s60, s69                                    // 0000000033A8: 923C453C
	v_lshlrev_b32_e32 v44, 4, v0                               // 0000000033AC: 24580084
	v_add_u32_e32 v44, s60, v44                                // 0000000033B0: 6858583C
	s_mul_i32 s60, 64, s69                                     // 0000000033B4: 923C45C0
	v_add_u32_e32 v45, s60, v44                                // 0000000033B8: 685A583C
	v_add_u32_e32 v46, s60, v45                                // 0000000033BC: 685C5A3C
	v_add_u32_e32 v47, s60, v46                                // 0000000033C0: 685E5C3C
	s_mov_b32 s92, s24                                         // 0000000033C4: BEDC0018
	s_mov_b32 s93, s25                                         // 0000000033C8: BEDD0019
	s_mov_b32 s94, s26                                         // 0000000033CC: BEDE001A
	s_mov_b32 s95, s27                                         // 0000000033D0: BEDF001B
	s_mul_i32 s60, s69, s65                                    // 0000000033D4: 923C4145
	s_add_u32 s92, s60, s92                                    // 0000000033D8: 805C5C3C
	s_addc_u32 s93, 0, s93                                     // 0000000033DC: 825D5D80
	s_mul_i32 s60, s2, 0x1000                                  // 0000000033E0: 923CFF02 00001000
	s_mul_i32 s61, s5, s73                                     // 0000000033E8: 923D4905
	s_add_u32 s60, s61, s60                                    // 0000000033EC: 803C3C3D
	s_add_u32 s12, s60, s12                                    // 0000000033F0: 800C0C3C
	s_addc_u32 s13, 0, s13                                     // 0000000033F4: 820D0D80
	s_mul_i32 s60, s7, 16                                      // 0000000033F8: 923C9007
	s_mul_i32 s60, s60, s70                                    // 0000000033FC: 923C463C
	v_lshlrev_b32_e32 v48, 4, v0                               // 000000003400: 24600084
	v_add_u32_e32 v48, s60, v48                                // 000000003404: 6860603C
	s_mul_i32 s60, 64, s70                                     // 000000003408: 923C46C0
	v_add_u32_e32 v49, s60, v48                                // 00000000340C: 6862603C
	v_add_u32_e32 v50, s60, v49                                // 000000003410: 6864623C
	v_add_u32_e32 v51, s60, v50                                // 000000003414: 6866643C
	s_mul_i32 s60, s70, 0x100                                  // 000000003418: 923CFF46 00000100
	s_mov_b32 s78, 0x400                                       // 000000003420: BECE00FF 00000400
	s_mul_i32 s61, s78, 3                                      // 000000003428: 923D834E
	s_sub_u32 s56, s60, s61                                    // 00000000342C: 80B83D3C
	s_mul_i32 s60, s3, 32                                      // 000000003430: 923CA003
	s_mul_i32 s60, 4, s60                                      // 000000003434: 923C3C84
	s_add_u32 s40, s60, s40                                    // 000000003438: 8028283C
	s_addc_u32 s41, 0, s41                                     // 00000000343C: 82292980
	v_and_b32_e32 v56, 15, v0                                  // 000000003440: 2670008F
	v_lshlrev_b32_e32 v9, 2, v56                               // 000000003444: 24127082
	v_add_u32_e32 v10, 64, v9                                  // 000000003448: 681412C0
	s_lshr_b32 s60, s64, 7                                     // 00000000344C: 8F3C8740
	s_mul_i32 s61, s60, 4                                      // 000000003450: 923D843C
	v_and_b32_e64 v11, v0, 1                                   // 000000003454: D113000B 00010300
	v_mul_i32_i24_e64 v11, v11, s61                            // 00000000345C: D106000B 00007B0B
	v_and_b32_e64 v56, v0, 3                                   // 000000003464: D1130038 00010700
	v_lshrrev_b32_e32 v56, 1, v56                              // 00000000346C: 20707081
	v_mul_i32_i24_e32 v56, 4, v56                              // 000000003470: 0C707084
	v_add_u32_e32 v11, v11, v56                                // 000000003474: 6816710B
	s_lshr_b32 s60, s65, 7                                     // 000000003478: 8F3C8741
	s_mul_i32 s60, s60, s61                                    // 00000000347C: 923C3D3C
	v_add_u32_e64 v13, v11, s60                                // 000000003480: D134000D 0000790B
	s_mov_b32 s4, 8                                            // 000000003488: BE840088
	s_mul_i32 s60, s2, 2                                       // 00000000348C: 923C8202
	s_mul_i32 s60, s60, s61                                    // 000000003490: 923C3D3C
	s_mul_i32 s61, s5, s74                                     // 000000003494: 923D4A05
	s_add_u32 s61, s61, s60                                    // 000000003498: 803D3C3D
	s_add_u32 s32, s61, s32                                    // 00000000349C: 8020203D
	s_addc_u32 s33, 0, s33                                     // 0000000034A0: 82212180
	s_lshr_b32 s60, s65, 7                                     // 0000000034A4: 8F3C8741
	s_mul_i32 s61, s60, 4                                      // 0000000034A8: 923D843C
	s_mul_i32 s60, s2, 2                                       // 0000000034AC: 923C8202
	s_mul_i32 s60, s60, 4                                      // 0000000034B0: 923C843C
	v_and_b32_e64 v6, v0, 1                                    // 0000000034B4: D1130006 00010300
	v_mul_i32_i24_e64 v6, v6, s61                              // 0000000034BC: D1060006 00007B06
	v_and_b32_e64 v56, v0, 3                                   // 0000000034C4: D1130038 00010700
	v_lshrrev_b32_e32 v56, 1, v56                              // 0000000034CC: 20707081
	v_mul_i32_i24_e32 v56, 4, v56                              // 0000000034D0: 0C707084
	v_add_i32 v6, v6, v56                                      // 0000000034D4: D29C0006 00027106
	v_add_i32 v6, v6, s60                                      // 0000000034DC: D29C0006 00007906
	s_mul_i32 s60, s5, s75                                     // 0000000034E4: 923C4B05
	s_add_u32 s16, s60, s16                                    // 0000000034E8: 8010103C
	s_addc_u32 s17, 0, s17                                     // 0000000034EC: 82111180
	s_mov_b32 s57, 0x100                                       // 0000000034F0: BEB900FF 00000100
	s_mov_b32 s58, 0x1000                                      // 0000000034F8: BEBA00FF 00001000
	s_mul_i32 s79, 2, s61                                      // 000000003500: 924F3D82
	s_mov_b32 s59, 0                                           // 000000003504: BEBB0080
	s_mov_b32 s90, s58                                         // 000000003508: BEDA003A
	s_mov_b32 s52, 0x7060302                                   // 00000000350C: BEB400FF 07060302
	s_mov_b32 s53, 0x400                                       // 000000003514: BEB500FF 00000400
	s_mov_b32 s54, 0x40100                                     // 00000000351C: BEB600FF 00040100
	s_mov_b32 s55, 0x4020100                                   // 000000003524: BEB700FF 04020100
	s_mov_b32 s6, 0x3fb8aa3b                                   // 00000000352C: BE8600FF 3FB8AA3B
	s_mov_b32 s77, 0xbd92220c                                  // 000000003534: BECD00FF BD92220C
	s_mov_b32 m0, s50                                          // 00000000353C: BEFC0032
	v_mov_b32_e32 v1, 0xbfcc4231                               // 000000003540: 7E0202FF BFCC4231
	v_mov_b32_e32 v53, 0xffff0000                              // 000000003548: 7E6A02FF FFFF0000
	v_mov_b32_e32 v54, 0x7fff0000                              // 000000003550: 7E6C02FF 7FFF0000
	v_mov_b32_e32 v55, 0x7fff                                  // 000000003558: 7E6E02FF 00007FFF
	s_waitcnt vmcnt(0) expcnt(0) lgkmcnt(0)                    // 000000003560: BF8C0000
	v_and_b32_e32 v7, 0xffffff, v7                             // 000000003564: 260E0EFF 00FFFFFF
	v_and_b32_e32 v8, 0xffffff, v8                             // 00000000356C: 261010FF 00FFFFFF
	v_lshlrev_b32_e32 v7, 2, v7                                // 000000003574: 240E0E82
	v_lshlrev_b32_e32 v8, 2, v8                                // 000000003578: 24101082
	s_lshr_b32 s60, s7, 1                                      // 00000000357C: 8F3C8107
	s_lshl_b32 s3, s66, 2                                      // 000000003580: 8E038242
	s_mul_i32 s60, s60, s3                                     // 000000003584: 923C033C
	s_add_u32 s28, s28, s60                                    // 000000003588: 801C3C1C
	s_addc_u32 s29, 0, s29                                     // 00000000358C: 821D1D80
	s_mov_b32 s30, s3                                          // 000000003590: BE9E0003
	s_lshl_b32 s3, s3, 1                                       // 000000003594: 8E038103
	s_and_b32 s61, s7, 1                                       // 000000003598: 863D8107
	s_cmp_eq_u32 s61, 1                                        // 00000000359C: BF06813D
	s_cselect_b32 s60, 0, 1                                    // 0000000035A0: 853C8180
	v_mul_i32_i24_e64 v56, v7, s60                             // 0000000035A4: D1060038 00007907
	v_mul_i32_i24_e64 v57, v8, s61                             // 0000000035AC: D1060039 00007B08
	v_add_u32_e32 v56, v56, v57                                // 0000000035B4: 68707338
	v_mov_b32_e32 v7, v56                                      // 0000000035B8: 7E0E0338
	s_mul_i32 s60, s7, 0x100                                   // 0000000035BC: 923CFF07 00000100
	s_sub_u32 s61, 4, s7                                       // 0000000035C4: 80BD0784
	s_mul_i32 s61, s61, 0x820                                  // 0000000035C8: 923DFF3D 00000820
	s_add_u32 s76, s60, s61                                    // 0000000035D0: 804C3D3C
	v_lshlrev_b32_e32 v3, 2, v0                                // 0000000035D4: 24060082
	buffer_load_dword v23, v11, s[32:35], 0 offen              // 0000000035D8: E0501000 8008170B
	buffer_load_dword v25, v9, s[40:43], 0 offen               // 0000000035E0: E0501000 800A1909
	buffer_load_dword v26, v10, s[40:43], 0 offen              // 0000000035E8: E0501000 800A1A0A
	buffer_load_dword v36, s[20:23], 0 offen lds               // 0000000035F0: E0511000 80050024
	s_add_u32 m0, 0x100, s50                                   // 0000000035F8: 807C32FF 00000100
	buffer_load_dword v37, s[20:23], 0 offen lds               // 000000003600: E0511000 80050025
	s_add_u32 m0, 0x200, s50                                   // 000000003608: 807C32FF 00000200
	buffer_load_dword v38, s[20:23], 0 offen lds               // 000000003610: E0511000 80050026
	s_add_u32 m0, 0x300, s50                                   // 000000003618: 807C32FF 00000300
	;; [unrolled: 2-line block ×5, first 2 shown]
	buffer_load_dword v42, s[20:23], 0 offen lds               // 000000003650: E0511000 8005002A
	s_add_u32 m0, 0x700, s50                                   // 000000003658: 807C32FF 00000700
	buffer_load_dword v43, s[20:23], 0 offen lds               // 000000003660: E0511000 8005002B
	s_add_u32 m0, s50, s76                                     // 000000003668: 807C4C32
	buffer_load_dword v7, s[28:31], 0 offen lds                // 00000000366C: E0511000 80070007
	s_add_u32 m0, 0, s51                                       // 000000003674: 807C3380
	s_add_u32 s20, s57, s20                                    // 000000003678: 80141439
	s_addc_u32 s21, 0, s21                                     // 00000000367C: 82151580
	s_add_u32 s28, s3, s28                                     // 000000003680: 801C1C03
	s_addc_u32 s29, 0, s29                                     // 000000003684: 821D1D80
	buffer_load_dwordx4 a[0:3], v44, s[24:27], 0 offen         // 000000003688: E05C1000 8086002C
	buffer_load_dwordx4 a[4:7], v44, s[24:27], 0 offen offset:1024// 000000003690: E05C1400 8086042C
	buffer_load_dwordx4 a[16:19], v45, s[24:27], 0 offen       // 000000003698: E05C1000 8086102D
	buffer_load_dwordx4 a[20:23], v45, s[24:27], 0 offen offset:1024// 0000000036A0: E05C1400 8086142D
	buffer_load_dwordx4 a[32:35], v46, s[24:27], 0 offen       // 0000000036A8: E05C1000 8086202E
	buffer_load_dwordx4 a[36:39], v46, s[24:27], 0 offen offset:1024// 0000000036B0: E05C1400 8086242E
	buffer_load_dwordx4 a[48:51], v47, s[24:27], 0 offen       // 0000000036B8: E05C1000 8086302F
	buffer_load_dwordx4 a[52:55], v47, s[24:27], 0 offen offset:1024// 0000000036C0: E05C1400 8086342F
	buffer_load_dwordx4 a[8:11], v44, s[24:27], 0 offen offset:2048// 0000000036C8: E05C1800 8086082C
	buffer_load_dwordx4 a[12:15], v44, s[24:27], 0 offen offset:3072// 0000000036D0: E05C1C00 80860C2C
	buffer_load_dwordx4 a[24:27], v45, s[24:27], 0 offen offset:2048// 0000000036D8: E05C1800 8086182D
	buffer_load_dwordx4 a[28:31], v45, s[24:27], 0 offen offset:3072// 0000000036E0: E05C1C00 80861C2D
	buffer_load_dwordx4 a[40:43], v46, s[24:27], 0 offen offset:2048// 0000000036E8: E05C1800 8086282E
	buffer_load_dwordx4 a[44:47], v46, s[24:27], 0 offen offset:3072// 0000000036F0: E05C1C00 80862C2E
	buffer_load_dwordx4 a[56:59], v47, s[24:27], 0 offen offset:2048// 0000000036F8: E05C1800 8086382F
	buffer_load_dwordx4 a[60:63], v47, s[24:27], 0 offen offset:3072// 000000003700: E05C1C00 80863C2F
	s_add_u32 s24, s58, s24                                    // 000000003708: 8018183A
	s_addc_u32 s25, 0, s25                                     // 00000000370C: 82191980
	v_mov_b32_e32 v128, 0                                      // 000000003710: 7F000280
	v_mov_b32_e32 v64, 0                                       // 000000003714: 7E800280
	v_mov_b32_e32 v129, 0                                      // 000000003718: 7F020280
	v_mov_b32_e32 v65, 0                                       // 00000000371C: 7E820280
	v_mov_b32_e32 v130, 0                                      // 000000003720: 7F040280
	v_mov_b32_e32 v66, 0                                       // 000000003724: 7E840280
	v_mov_b32_e32 v131, 0                                      // 000000003728: 7F060280
	v_mov_b32_e32 v67, 0                                       // 00000000372C: 7E860280
	v_mov_b32_e32 v132, 0                                      // 000000003730: 7F080280
	v_mov_b32_e32 v68, 0                                       // 000000003734: 7E880280
	v_mov_b32_e32 v133, 0                                      // 000000003738: 7F0A0280
	v_mov_b32_e32 v69, 0                                       // 00000000373C: 7E8A0280
	v_mov_b32_e32 v134, 0                                      // 000000003740: 7F0C0280
	v_mov_b32_e32 v70, 0                                       // 000000003744: 7E8C0280
	v_mov_b32_e32 v135, 0                                      // 000000003748: 7F0E0280
	v_mov_b32_e32 v71, 0                                       // 00000000374C: 7E8E0280
	v_mov_b32_e32 v136, 0                                      // 000000003750: 7F100280
	v_mov_b32_e32 v72, 0                                       // 000000003754: 7E900280
	v_mov_b32_e32 v137, 0                                      // 000000003758: 7F120280
	v_mov_b32_e32 v73, 0                                       // 00000000375C: 7E920280
	v_mov_b32_e32 v138, 0                                      // 000000003760: 7F140280
	v_mov_b32_e32 v74, 0                                       // 000000003764: 7E940280
	v_mov_b32_e32 v139, 0                                      // 000000003768: 7F160280
	v_mov_b32_e32 v75, 0                                       // 00000000376C: 7E960280
	v_mov_b32_e32 v140, 0                                      // 000000003770: 7F180280
	v_mov_b32_e32 v76, 0                                       // 000000003774: 7E980280
	v_mov_b32_e32 v141, 0                                      // 000000003778: 7F1A0280
	v_mov_b32_e32 v77, 0                                       // 00000000377C: 7E9A0280
	v_mov_b32_e32 v142, 0                                      // 000000003780: 7F1C0280
	v_mov_b32_e32 v78, 0                                       // 000000003784: 7E9C0280
	v_mov_b32_e32 v143, 0                                      // 000000003788: 7F1E0280
	v_mov_b32_e32 v79, 0                                       // 00000000378C: 7E9E0280
	v_mov_b32_e32 v144, 0                                      // 000000003790: 7F200280
	v_mov_b32_e32 v80, 0                                       // 000000003794: 7EA00280
	v_mov_b32_e32 v145, 0                                      // 000000003798: 7F220280
	v_mov_b32_e32 v81, 0                                       // 00000000379C: 7EA20280
	v_mov_b32_e32 v146, 0                                      // 0000000037A0: 7F240280
	v_mov_b32_e32 v82, 0                                       // 0000000037A4: 7EA40280
	v_mov_b32_e32 v147, 0                                      // 0000000037A8: 7F260280
	v_mov_b32_e32 v83, 0                                       // 0000000037AC: 7EA60280
	v_mov_b32_e32 v148, 0                                      // 0000000037B0: 7F280280
	v_mov_b32_e32 v84, 0                                       // 0000000037B4: 7EA80280
	v_mov_b32_e32 v149, 0                                      // 0000000037B8: 7F2A0280
	v_mov_b32_e32 v85, 0                                       // 0000000037BC: 7EAA0280
	v_mov_b32_e32 v150, 0                                      // 0000000037C0: 7F2C0280
	v_mov_b32_e32 v86, 0                                       // 0000000037C4: 7EAC0280
	v_mov_b32_e32 v151, 0                                      // 0000000037C8: 7F2E0280
	v_mov_b32_e32 v87, 0                                       // 0000000037CC: 7EAE0280
	v_mov_b32_e32 v152, 0                                      // 0000000037D0: 7F300280
	v_mov_b32_e32 v88, 0                                       // 0000000037D4: 7EB00280
	v_mov_b32_e32 v153, 0                                      // 0000000037D8: 7F320280
	v_mov_b32_e32 v89, 0                                       // 0000000037DC: 7EB20280
	v_mov_b32_e32 v154, 0                                      // 0000000037E0: 7F340280
	v_mov_b32_e32 v90, 0                                       // 0000000037E4: 7EB40280
	v_mov_b32_e32 v155, 0                                      // 0000000037E8: 7F360280
	v_mov_b32_e32 v91, 0                                       // 0000000037EC: 7EB60280
	v_mov_b32_e32 v156, 0                                      // 0000000037F0: 7F380280
	v_mov_b32_e32 v92, 0                                       // 0000000037F4: 7EB80280
	v_mov_b32_e32 v157, 0                                      // 0000000037F8: 7F3A0280
	v_mov_b32_e32 v93, 0                                       // 0000000037FC: 7EBA0280
	v_mov_b32_e32 v158, 0                                      // 000000003800: 7F3C0280
	v_mov_b32_e32 v94, 0                                       // 000000003804: 7EBC0280
	v_mov_b32_e32 v159, 0                                      // 000000003808: 7F3E0280
	v_mov_b32_e32 v95, 0                                       // 00000000380C: 7EBE0280
	v_mov_b32_e32 v160, 0                                      // 000000003810: 7F400280
	v_mov_b32_e32 v96, 0                                       // 000000003814: 7EC00280
	v_mov_b32_e32 v161, 0                                      // 000000003818: 7F420280
	v_mov_b32_e32 v97, 0                                       // 00000000381C: 7EC20280
	v_mov_b32_e32 v162, 0                                      // 000000003820: 7F440280
	v_mov_b32_e32 v98, 0                                       // 000000003824: 7EC40280
	v_mov_b32_e32 v163, 0                                      // 000000003828: 7F460280
	v_mov_b32_e32 v99, 0                                       // 00000000382C: 7EC60280
	v_mov_b32_e32 v164, 0                                      // 000000003830: 7F480280
	v_mov_b32_e32 v100, 0                                      // 000000003834: 7EC80280
	v_mov_b32_e32 v165, 0                                      // 000000003838: 7F4A0280
	v_mov_b32_e32 v101, 0                                      // 00000000383C: 7ECA0280
	v_mov_b32_e32 v166, 0                                      // 000000003840: 7F4C0280
	v_mov_b32_e32 v102, 0                                      // 000000003844: 7ECC0280
	v_mov_b32_e32 v167, 0                                      // 000000003848: 7F4E0280
	v_mov_b32_e32 v103, 0                                      // 00000000384C: 7ECE0280
	v_mov_b32_e32 v168, 0                                      // 000000003850: 7F500280
	v_mov_b32_e32 v104, 0                                      // 000000003854: 7ED00280
	v_mov_b32_e32 v169, 0                                      // 000000003858: 7F520280
	v_mov_b32_e32 v105, 0                                      // 00000000385C: 7ED20280
	v_mov_b32_e32 v170, 0                                      // 000000003860: 7F540280
	v_mov_b32_e32 v106, 0                                      // 000000003864: 7ED40280
	v_mov_b32_e32 v171, 0                                      // 000000003868: 7F560280
	v_mov_b32_e32 v107, 0                                      // 00000000386C: 7ED60280
	v_mov_b32_e32 v172, 0                                      // 000000003870: 7F580280
	v_mov_b32_e32 v108, 0                                      // 000000003874: 7ED80280
	v_mov_b32_e32 v173, 0                                      // 000000003878: 7F5A0280
	v_mov_b32_e32 v109, 0                                      // 00000000387C: 7EDA0280
	v_mov_b32_e32 v174, 0                                      // 000000003880: 7F5C0280
	v_mov_b32_e32 v110, 0                                      // 000000003884: 7EDC0280
	v_mov_b32_e32 v175, 0                                      // 000000003888: 7F5E0280
	v_mov_b32_e32 v111, 0                                      // 00000000388C: 7EDE0280
	v_mov_b32_e32 v176, 0                                      // 000000003890: 7F600280
	v_mov_b32_e32 v112, 0                                      // 000000003894: 7EE00280
	v_mov_b32_e32 v177, 0                                      // 000000003898: 7F620280
	v_mov_b32_e32 v113, 0                                      // 00000000389C: 7EE20280
	v_mov_b32_e32 v178, 0                                      // 0000000038A0: 7F640280
	v_mov_b32_e32 v114, 0                                      // 0000000038A4: 7EE40280
	v_mov_b32_e32 v179, 0                                      // 0000000038A8: 7F660280
	v_mov_b32_e32 v115, 0                                      // 0000000038AC: 7EE60280
	v_mov_b32_e32 v180, 0                                      // 0000000038B0: 7F680280
	v_mov_b32_e32 v116, 0                                      // 0000000038B4: 7EE80280
	v_mov_b32_e32 v181, 0                                      // 0000000038B8: 7F6A0280
	v_mov_b32_e32 v117, 0                                      // 0000000038BC: 7EEA0280
	v_mov_b32_e32 v182, 0                                      // 0000000038C0: 7F6C0280
	v_mov_b32_e32 v118, 0                                      // 0000000038C4: 7EEC0280
	v_mov_b32_e32 v183, 0                                      // 0000000038C8: 7F6E0280
	v_mov_b32_e32 v119, 0                                      // 0000000038CC: 7EEE0280
	v_mov_b32_e32 v184, 0                                      // 0000000038D0: 7F700280
	v_mov_b32_e32 v120, 0                                      // 0000000038D4: 7EF00280
	v_mov_b32_e32 v185, 0                                      // 0000000038D8: 7F720280
	v_mov_b32_e32 v121, 0                                      // 0000000038DC: 7EF20280
	v_mov_b32_e32 v186, 0                                      // 0000000038E0: 7F740280
	v_mov_b32_e32 v122, 0                                      // 0000000038E4: 7EF40280
	v_mov_b32_e32 v187, 0                                      // 0000000038E8: 7F760280
	v_mov_b32_e32 v123, 0                                      // 0000000038EC: 7EF60280
	v_mov_b32_e32 v188, 0                                      // 0000000038F0: 7F780280
	v_mov_b32_e32 v124, 0                                      // 0000000038F4: 7EF80280
	v_mov_b32_e32 v189, 0                                      // 0000000038F8: 7F7A0280
	v_mov_b32_e32 v125, 0                                      // 0000000038FC: 7EFA0280
	v_mov_b32_e32 v190, 0                                      // 000000003900: 7F7C0280
	v_mov_b32_e32 v126, 0                                      // 000000003904: 7EFC0280
	v_mov_b32_e32 v191, 0                                      // 000000003908: 7F7E0280
	v_mov_b32_e32 v127, 0                                      // 00000000390C: 7EFE0280
	v_lshrrev_b32_e32 v56, 4, v0                               // 000000003910: 20700084
	v_mul_i32_i24_e32 v4, 34, v56                              // 000000003914: 0C0870A2
	v_and_b32_e32 v56, 15, v0                                  // 000000003918: 2670008F
	v_mul_i32_i24_e32 v57, 2, v56                              // 00000000391C: 0C727082
	v_add_u32_e32 v4, v57, v4                                  // 000000003920: 68080939
	s_mul_i32 s60, s7, 0x88                                    // 000000003924: 923CFF07 00000088
	v_add_u32_e32 v4, s60, v4                                  // 00000000392C: 6808083C
	v_lshlrev_b32_e32 v4, 2, v4                                // 000000003930: 24080882
	v_lshrrev_b32_e32 v56, 1, v0                               // 000000003934: 20700081
	v_mul_i32_i24_e32 v5, 34, v56                              // 000000003938: 0C0A70A2
	v_and_b32_e32 v57, 1, v0                                   // 00000000393C: 26720081
	v_add_u32_e32 v5, v57, v5                                  // 000000003940: 680A0B39
	s_mul_i32 s60, s7, 2                                       // 000000003944: 923C8207
	v_add_u32_e32 v5, s60, v5                                  // 000000003948: 680A0A3C
	v_lshlrev_b32_e32 v5, 2, v5                                // 00000000394C: 240A0A82
	s_waitcnt vmcnt(16)                                        // 000000003950: BF8C4F70
	s_barrier                                                  // 000000003954: BF8A0000
	ds_read_b128 v[192:195], v2                                // 000000003958: D9FE0000 C0000002
	ds_read_b128 v[196:199], v2 offset:64                      // 000000003960: D9FE0040 C4000002
	ds_read_b128 v[200:203], v2 offset:128                     // 000000003968: D9FE0080 C8000002
	ds_read_b128 v[204:207], v2 offset:192                     // 000000003970: D9FE00C0 CC000002
	ds_read_b128 v[208:211], v2 offset:1024                    // 000000003978: D9FE0400 D0000002
	ds_read_b128 v[212:215], v2 offset:1088                    // 000000003980: D9FE0440 D4000002
	ds_read_b128 v[216:219], v2 offset:1152                    // 000000003988: D9FE0480 D8000002
	ds_read_b128 v[220:223], v2 offset:1216                    // 000000003990: D9FE04C0 DC000002
	ds_read_b32 v15, v3 offset:8320                            // 000000003998: D86C2080 0F000003
	ds_read_b32 v16, v3 offset:8576                            // 0000000039A0: D86C2180 10000003
	ds_read_b32 v17, v3 offset:8832                            // 0000000039A8: D86C2280 11000003
	ds_read_b32 v18, v3 offset:9088                            // 0000000039B0: D86C2380 12000003
	s_cmp_lt_i32 s7, 2                                         // 0000000039B8: BF048207
	s_cbranch_scc0 label_1018                                  // 0000000039BC: BF840D28

00000000000039c0 <label_02F0>:
	s_waitcnt vmcnt(8) lgkmcnt(0)                              // 0000000039C0: BF8C0078
	s_barrier                                                  // 0000000039C4: BF8A0000
	v_mfma_f32_16x16x32_fp8_fp8 v[160:163], a[0:1], v[192:193], 0// 0000000039C8: D3F300A0 0A038100
	v_mfma_f32_16x16x32_fp8_fp8 v[160:163], a[2:3], v[194:195], v[160:163]// 0000000039D0: D3F300A0 0E838502
	buffer_load_dwordx4 a[64:67], v44, s[92:95], 0 offen       // 0000000039D8: E05C1000 8097402C
	v_mfma_f32_16x16x32_fp8_fp8 v[160:163], a[4:5], v[196:197], v[160:163]// 0000000039E0: D3F300A0 0E838904
	v_mfma_f32_16x16x32_fp8_fp8 v[160:163], a[6:7], v[198:199], v[160:163]// 0000000039E8: D3F300A0 0E838D06
	buffer_load_dword v36, s[20:23], 0 offen lds               // 0000000039F0: E0511000 80050024
	s_add_u32 m0, 0x100, s51                                   // 0000000039F8: 807C33FF 00000100
	v_mfma_f32_16x16x32_fp8_fp8 v[164:167], a[0:1], v[208:209], 0// 000000003A00: D3F300A4 0A03A100
	v_mfma_f32_16x16x32_fp8_fp8 v[164:167], a[2:3], v[210:211], v[164:167]// 000000003A08: D3F300A4 0E93A502
	buffer_load_dwordx4 a[68:71], v44, s[92:95], 0 offen offset:1024// 000000003A10: E05C1400 8097442C
	v_mfma_f32_16x16x32_fp8_fp8 v[164:167], a[4:5], v[212:213], v[164:167]// 000000003A18: D3F300A4 0E93A904
	v_mfma_f32_16x16x32_fp8_fp8 v[164:167], a[6:7], v[214:215], v[164:167]// 000000003A20: D3F300A4 0E93AD06
	buffer_load_dword v37, s[20:23], 0 offen lds               // 000000003A28: E0511000 80050025
	s_add_u32 m0, 0x200, s51                                   // 000000003A30: 807C33FF 00000200
	v_mfma_f32_16x16x32_fp8_fp8 v[168:171], a[16:17], v[192:193], 0// 000000003A38: D3F300A8 0A038110
	v_mfma_f32_16x16x32_fp8_fp8 v[168:171], a[18:19], v[194:195], v[168:171]// 000000003A40: D3F300A8 0EA38512
	buffer_load_dwordx4 a[80:83], v45, s[92:95], 0 offen       // 000000003A48: E05C1000 8097502D
	v_mfma_f32_16x16x32_fp8_fp8 v[168:171], a[20:21], v[196:197], v[168:171]// 000000003A50: D3F300A8 0EA38914
	v_mfma_f32_16x16x32_fp8_fp8 v[168:171], a[22:23], v[198:199], v[168:171]// 000000003A58: D3F300A8 0EA38D16
	buffer_load_dword v38, s[20:23], 0 offen lds               // 000000003A60: E0511000 80050026
	s_add_u32 m0, 0x300, s51                                   // 000000003A68: 807C33FF 00000300
	v_mfma_f32_16x16x32_fp8_fp8 v[172:175], a[16:17], v[208:209], 0// 000000003A70: D3F300AC 0A03A110
	v_mfma_f32_16x16x32_fp8_fp8 v[172:175], a[18:19], v[210:211], v[172:175]// 000000003A78: D3F300AC 0EB3A512
	buffer_load_dwordx4 a[84:87], v45, s[92:95], 0 offen offset:1024// 000000003A80: E05C1400 8097542D
	v_mfma_f32_16x16x32_fp8_fp8 v[172:175], a[20:21], v[212:213], v[172:175]// 000000003A88: D3F300AC 0EB3A914
	v_mfma_f32_16x16x32_fp8_fp8 v[172:175], a[22:23], v[214:215], v[172:175]// 000000003A90: D3F300AC 0EB3AD16
	buffer_load_dword v39, s[20:23], 0 offen lds               // 000000003A98: E0511000 80050027
	s_add_u32 m0, 0x400, s51                                   // 000000003AA0: 807C33FF 00000400
	v_mfma_f32_16x16x32_fp8_fp8 v[176:179], a[32:33], v[192:193], 0// 000000003AA8: D3F300B0 0A038120
	v_mfma_f32_16x16x32_fp8_fp8 v[176:179], a[34:35], v[194:195], v[176:179]// 000000003AB0: D3F300B0 0EC38522
	buffer_load_dwordx4 a[96:99], v46, s[92:95], 0 offen       // 000000003AB8: E05C1000 8097602E
	v_mfma_f32_16x16x32_fp8_fp8 v[176:179], a[36:37], v[196:197], v[176:179]// 000000003AC0: D3F300B0 0EC38924
	v_mfma_f32_16x16x32_fp8_fp8 v[176:179], a[38:39], v[198:199], v[176:179]// 000000003AC8: D3F300B0 0EC38D26
	buffer_load_dword v40, s[20:23], 0 offen lds               // 000000003AD0: E0511000 80050028
	s_add_u32 m0, 0x500, s51                                   // 000000003AD8: 807C33FF 00000500
	v_mfma_f32_16x16x32_fp8_fp8 v[180:183], a[32:33], v[208:209], 0// 000000003AE0: D3F300B4 0A03A120
	v_mfma_f32_16x16x32_fp8_fp8 v[180:183], a[34:35], v[210:211], v[180:183]// 000000003AE8: D3F300B4 0ED3A522
	buffer_load_dwordx4 a[100:103], v46, s[92:95], 0 offen offset:1024// 000000003AF0: E05C1400 8097642E
	v_mfma_f32_16x16x32_fp8_fp8 v[180:183], a[36:37], v[212:213], v[180:183]// 000000003AF8: D3F300B4 0ED3A924
	v_mfma_f32_16x16x32_fp8_fp8 v[180:183], a[38:39], v[214:215], v[180:183]// 000000003B00: D3F300B4 0ED3AD26
	buffer_load_dword v41, s[20:23], 0 offen lds               // 000000003B08: E0511000 80050029
	s_add_u32 m0, 0x600, s51                                   // 000000003B10: 807C33FF 00000600
	v_mfma_f32_16x16x32_fp8_fp8 v[184:187], a[48:49], v[192:193], 0// 000000003B18: D3F300B8 0A038130
	v_mfma_f32_16x16x32_fp8_fp8 v[184:187], a[50:51], v[194:195], v[184:187]// 000000003B20: D3F300B8 0EE38532
	buffer_load_dwordx4 a[112:115], v47, s[92:95], 0 offen     // 000000003B28: E05C1000 8097702F
	v_mfma_f32_16x16x32_fp8_fp8 v[184:187], a[52:53], v[196:197], v[184:187]// 000000003B30: D3F300B8 0EE38934
	v_mfma_f32_16x16x32_fp8_fp8 v[184:187], a[54:55], v[198:199], v[184:187]// 000000003B38: D3F300B8 0EE38D36
	buffer_load_dword v42, s[20:23], 0 offen lds               // 000000003B40: E0511000 8005002A
	s_add_u32 m0, 0x700, s51                                   // 000000003B48: 807C33FF 00000700
	v_mfma_f32_16x16x32_fp8_fp8 v[188:191], a[48:49], v[208:209], 0// 000000003B50: D3F300BC 0A03A130
	v_mfma_f32_16x16x32_fp8_fp8 v[188:191], a[50:51], v[210:211], v[188:191]// 000000003B58: D3F300BC 0EF3A532
	buffer_load_dwordx4 a[116:119], v47, s[92:95], 0 offen offset:1024// 000000003B60: E05C1400 8097742F
	v_mfma_f32_16x16x32_fp8_fp8 v[188:191], a[52:53], v[212:213], v[188:191]// 000000003B68: D3F300BC 0EF3A934
	v_mfma_f32_16x16x32_fp8_fp8 v[188:191], a[54:55], v[214:215], v[188:191]// 000000003B70: D3F300BC 0EF3AD36
	buffer_load_dword v43, s[20:23], 0 offen lds               // 000000003B78: E0511000 8005002B
	s_add_u32 m0, s51, s76                                     // 000000003B80: 807C4C33
	buffer_load_dword v7, s[28:31], 0 offen lds                // 000000003B84: E0511000 80070007
	s_add_u32 m0, 0, s50                                       // 000000003B8C: 807C3280
	buffer_load_dword v24, v13, s[32:35], 0 offen              // 000000003B90: E0501000 8008180D
	v_mul_f32_dpp v56, v23, v15 row_newbcast:0 row_mask:0xf bank_mask:0xf// 000000003B98: 0A701EFA FF015017
	v_mov_b32_e32 v57, v56                                     // 000000003BA0: 7E720338
	v_pk_fma_f32 v[128:129], v[160:161], v[56:57], v[128:129]  // 000000003BA4: D3B04080 1E0271A0
	v_pk_fma_f32 v[130:131], v[162:163], v[56:57], v[130:131]  // 000000003BAC: D3B04082 1E0A71A2
	v_pk_fma_f32 v[136:137], v[168:169], v[56:57], v[136:137]  // 000000003BB4: D3B04088 1E2271A8
	v_pk_fma_f32 v[138:139], v[170:171], v[56:57], v[138:139]  // 000000003BBC: D3B0408A 1E2A71AA
	v_mul_f32_dpp v56, v23, v15 row_newbcast:1 row_mask:0xf bank_mask:0xf// 000000003BC4: 0A701EFA FF015117
	v_mov_b32_e32 v57, v56                                     // 000000003BCC: 7E720338
	v_pk_fma_f32 v[144:145], v[176:177], v[56:57], v[144:145]  // 000000003BD0: D3B04090 1E4271B0
	v_pk_fma_f32 v[146:147], v[178:179], v[56:57], v[146:147]  // 000000003BD8: D3B04092 1E4A71B2
	v_pk_fma_f32 v[152:153], v[184:185], v[56:57], v[152:153]  // 000000003BE0: D3B04098 1E6271B8
	v_pk_fma_f32 v[154:155], v[186:187], v[56:57], v[154:155]  // 000000003BE8: D3B0409A 1E6A71BA
	v_mul_f32_dpp v56, v23, v16 row_newbcast:0 row_mask:0xf bank_mask:0xf// 000000003BF0: 0A7020FA FF015017
	v_mov_b32_e32 v57, v56                                     // 000000003BF8: 7E720338
	v_pk_fma_f32 v[132:133], v[164:165], v[56:57], v[132:133]  // 000000003BFC: D3B04084 1E1271A4
	v_pk_fma_f32 v[134:135], v[166:167], v[56:57], v[134:135]  // 000000003C04: D3B04086 1E1A71A6
	v_pk_fma_f32 v[140:141], v[172:173], v[56:57], v[140:141]  // 000000003C0C: D3B0408C 1E3271AC
	v_pk_fma_f32 v[142:143], v[174:175], v[56:57], v[142:143]  // 000000003C14: D3B0408E 1E3A71AE
	v_mul_f32_dpp v56, v23, v16 row_newbcast:1 row_mask:0xf bank_mask:0xf// 000000003C1C: 0A7020FA FF015117
	v_mov_b32_e32 v57, v56                                     // 000000003C24: 7E720338
	v_pk_fma_f32 v[148:149], v[180:181], v[56:57], v[148:149]  // 000000003C28: D3B04094 1E5271B4
	v_pk_fma_f32 v[150:151], v[182:183], v[56:57], v[150:151]  // 000000003C30: D3B04096 1E5A71B6
	v_pk_fma_f32 v[156:157], v[188:189], v[56:57], v[156:157]  // 000000003C38: D3B0409C 1E7271BC
	v_pk_fma_f32 v[158:159], v[190:191], v[56:57], v[158:159]  // 000000003C40: D3B0409E 1E7A71BE
	s_waitcnt vmcnt(22)                                        // 000000003C48: BF8C4F76
	v_mfma_f32_16x16x32_fp8_fp8 v[160:163], a[8:9], v[200:201], 0// 000000003C4C: D3F300A0 0A039108
	v_mfma_f32_16x16x32_fp8_fp8 v[160:163], a[10:11], v[202:203], v[160:163]// 000000003C54: D3F300A0 0E83950A
	buffer_load_dwordx4 a[72:75], v44, s[92:95], 0 offen offset:2048// 000000003C5C: E05C1800 8097482C
	v_mfma_f32_16x16x32_fp8_fp8 v[160:163], a[12:13], v[204:205], v[160:163]// 000000003C64: D3F300A0 0E83990C
	v_mfma_f32_16x16x32_fp8_fp8 v[160:163], a[14:15], v[206:207], v[160:163]// 000000003C6C: D3F300A0 0E839D0E
	v_mfma_f32_16x16x32_fp8_fp8 v[164:167], a[8:9], v[216:217], 0// 000000003C74: D3F300A4 0A03B108
	v_mfma_f32_16x16x32_fp8_fp8 v[164:167], a[10:11], v[218:219], v[164:167]// 000000003C7C: D3F300A4 0E93B50A
	buffer_load_dwordx4 a[76:79], v44, s[92:95], 0 offen offset:3072// 000000003C84: E05C1C00 80974C2C
	v_mfma_f32_16x16x32_fp8_fp8 v[164:167], a[12:13], v[220:221], v[164:167]// 000000003C8C: D3F300A4 0E93B90C
	v_mfma_f32_16x16x32_fp8_fp8 v[164:167], a[14:15], v[222:223], v[164:167]// 000000003C94: D3F300A4 0E93BD0E
	v_mfma_f32_16x16x32_fp8_fp8 v[168:171], a[24:25], v[200:201], 0// 000000003C9C: D3F300A8 0A039118
	v_mfma_f32_16x16x32_fp8_fp8 v[168:171], a[26:27], v[202:203], v[168:171]// 000000003CA4: D3F300A8 0EA3951A
	buffer_load_dwordx4 a[88:91], v45, s[92:95], 0 offen offset:2048// 000000003CAC: E05C1800 8097582D
	v_mfma_f32_16x16x32_fp8_fp8 v[168:171], a[28:29], v[204:205], v[168:171]// 000000003CB4: D3F300A8 0EA3991C
	v_mfma_f32_16x16x32_fp8_fp8 v[168:171], a[30:31], v[206:207], v[168:171]// 000000003CBC: D3F300A8 0EA39D1E
	v_mfma_f32_16x16x32_fp8_fp8 v[172:175], a[24:25], v[216:217], 0// 000000003CC4: D3F300AC 0A03B118
	v_mfma_f32_16x16x32_fp8_fp8 v[172:175], a[26:27], v[218:219], v[172:175]// 000000003CCC: D3F300AC 0EB3B51A
	buffer_load_dwordx4 a[92:95], v45, s[92:95], 0 offen offset:3072// 000000003CD4: E05C1C00 80975C2D
	v_mfma_f32_16x16x32_fp8_fp8 v[172:175], a[28:29], v[220:221], v[172:175]// 000000003CDC: D3F300AC 0EB3B91C
	v_mfma_f32_16x16x32_fp8_fp8 v[172:175], a[30:31], v[222:223], v[172:175]// 000000003CE4: D3F300AC 0EB3BD1E
	s_waitcnt vmcnt(22)                                        // 000000003CEC: BF8C4F76
	v_mfma_f32_16x16x32_fp8_fp8 v[176:179], a[40:41], v[200:201], 0// 000000003CF0: D3F300B0 0A039128
	v_mfma_f32_16x16x32_fp8_fp8 v[176:179], a[42:43], v[202:203], v[176:179]// 000000003CF8: D3F300B0 0EC3952A
	buffer_load_dwordx4 a[104:107], v46, s[92:95], 0 offen offset:2048// 000000003D00: E05C1800 8097682E
	v_mfma_f32_16x16x32_fp8_fp8 v[176:179], a[44:45], v[204:205], v[176:179]// 000000003D08: D3F300B0 0EC3992C
	v_mfma_f32_16x16x32_fp8_fp8 v[176:179], a[46:47], v[206:207], v[176:179]// 000000003D10: D3F300B0 0EC39D2E
	v_mfma_f32_16x16x32_fp8_fp8 v[180:183], a[40:41], v[216:217], 0// 000000003D18: D3F300B4 0A03B128
	v_mfma_f32_16x16x32_fp8_fp8 v[180:183], a[42:43], v[218:219], v[180:183]// 000000003D20: D3F300B4 0ED3B52A
	buffer_load_dwordx4 a[108:111], v46, s[92:95], 0 offen offset:3072// 000000003D28: E05C1C00 80976C2E
	v_mfma_f32_16x16x32_fp8_fp8 v[180:183], a[44:45], v[220:221], v[180:183]// 000000003D30: D3F300B4 0ED3B92C
	v_mfma_f32_16x16x32_fp8_fp8 v[180:183], a[46:47], v[222:223], v[180:183]// 000000003D38: D3F300B4 0ED3BD2E
	v_mfma_f32_16x16x32_fp8_fp8 v[184:187], a[56:57], v[200:201], 0// 000000003D40: D3F300B8 0A039138
	v_mfma_f32_16x16x32_fp8_fp8 v[184:187], a[58:59], v[202:203], v[184:187]// 000000003D48: D3F300B8 0EE3953A
	buffer_load_dwordx4 a[120:123], v47, s[92:95], 0 offen offset:2048// 000000003D50: E05C1800 8097782F
	v_mfma_f32_16x16x32_fp8_fp8 v[184:187], a[60:61], v[204:205], v[184:187]// 000000003D58: D3F300B8 0EE3993C
	v_mfma_f32_16x16x32_fp8_fp8 v[184:187], a[62:63], v[206:207], v[184:187]// 000000003D60: D3F300B8 0EE39D3E
	v_mfma_f32_16x16x32_fp8_fp8 v[188:191], a[56:57], v[216:217], 0// 000000003D68: D3F300BC 0A03B138
	v_mfma_f32_16x16x32_fp8_fp8 v[188:191], a[58:59], v[218:219], v[188:191]// 000000003D70: D3F300BC 0EF3B53A
	buffer_load_dwordx4 a[124:127], v47, s[92:95], 0 offen offset:3072// 000000003D78: E05C1C00 80977C2F
	v_mfma_f32_16x16x32_fp8_fp8 v[188:191], a[60:61], v[220:221], v[188:191]// 000000003D80: D3F300BC 0EF3B93C
	v_mfma_f32_16x16x32_fp8_fp8 v[188:191], a[62:63], v[222:223], v[188:191]// 000000003D88: D3F300BC 0EF3BD3E
	v_mul_f32_dpp v56, v23, v17 row_newbcast:2 row_mask:0xf bank_mask:0xf// 000000003D90: 0A7022FA FF015217
	v_mov_b32_e32 v57, v56                                     // 000000003D98: 7E720338
	v_pk_fma_f32 v[128:129], v[160:161], v[56:57], v[128:129]  // 000000003D9C: D3B04080 1E0271A0
	v_pk_fma_f32 v[130:131], v[162:163], v[56:57], v[130:131]  // 000000003DA4: D3B04082 1E0A71A2
	v_pk_fma_f32 v[136:137], v[168:169], v[56:57], v[136:137]  // 000000003DAC: D3B04088 1E2271A8
	v_pk_fma_f32 v[138:139], v[170:171], v[56:57], v[138:139]  // 000000003DB4: D3B0408A 1E2A71AA
	v_mul_f32_dpp v56, v23, v17 row_newbcast:3 row_mask:0xf bank_mask:0xf// 000000003DBC: 0A7022FA FF015317
	v_mov_b32_e32 v57, v56                                     // 000000003DC4: 7E720338
	v_pk_fma_f32 v[144:145], v[176:177], v[56:57], v[144:145]  // 000000003DC8: D3B04090 1E4271B0
	v_pk_fma_f32 v[146:147], v[178:179], v[56:57], v[146:147]  // 000000003DD0: D3B04092 1E4A71B2
	v_pk_fma_f32 v[152:153], v[184:185], v[56:57], v[152:153]  // 000000003DD8: D3B04098 1E6271B8
	v_pk_fma_f32 v[154:155], v[186:187], v[56:57], v[154:155]  // 000000003DE0: D3B0409A 1E6A71BA
	v_mul_f32_dpp v56, v23, v18 row_newbcast:2 row_mask:0xf bank_mask:0xf// 000000003DE8: 0A7024FA FF015217
	v_mov_b32_e32 v57, v56                                     // 000000003DF0: 7E720338
	v_pk_fma_f32 v[132:133], v[164:165], v[56:57], v[132:133]  // 000000003DF4: D3B04084 1E1271A4
	v_pk_fma_f32 v[134:135], v[166:167], v[56:57], v[134:135]  // 000000003DFC: D3B04086 1E1A71A6
	v_pk_fma_f32 v[140:141], v[172:173], v[56:57], v[140:141]  // 000000003E04: D3B0408C 1E3271AC
	v_pk_fma_f32 v[142:143], v[174:175], v[56:57], v[142:143]  // 000000003E0C: D3B0408E 1E3A71AE
	v_mul_f32_dpp v56, v23, v18 row_newbcast:3 row_mask:0xf bank_mask:0xf// 000000003E14: 0A7024FA FF015317
	v_mov_b32_e32 v57, v56                                     // 000000003E1C: 7E720338
	v_pk_fma_f32 v[148:149], v[180:181], v[56:57], v[148:149]  // 000000003E20: D3B04094 1E5271B4
	v_pk_fma_f32 v[150:151], v[182:183], v[56:57], v[150:151]  // 000000003E28: D3B04096 1E5A71B6
	v_pk_fma_f32 v[156:157], v[188:189], v[56:57], v[156:157]  // 000000003E30: D3B0409C 1E7271BC
	v_pk_fma_f32 v[158:159], v[190:191], v[56:57], v[158:159]  // 000000003E38: D3B0409E 1E7A71BE
	s_add_u32 s60, 0x100, s80                                  // 000000003E40: 803C50FF 00000100
	s_cmp_lt_u32 s60, s81                                      // 000000003E48: BF0A513C
	s_cselect_b32 s4, s4, 0                                    // 000000003E4C: 85048004
	s_add_u32 s32, s4, s32                                     // 000000003E50: 80202004
	s_addc_u32 s33, 0, s33                                     // 000000003E54: 82212180
	s_waitcnt vmcnt(8)                                         // 000000003E58: BF8C0F78
	s_barrier                                                  // 000000003E5C: BF8A0000
	v_mfma_f32_16x16x32_fp8_fp8 v[96:99], a[64:65], v[192:193], 0// 000000003E60: D3F30060 0A038140
	v_mfma_f32_16x16x32_fp8_fp8 v[96:99], a[66:67], v[194:195], v[96:99]// 000000003E68: D3F30060 0D838542
	buffer_load_dwordx4 a[0:3], v44, s[24:27], 0 offen         // 000000003E70: E05C1000 8086002C
	v_mfma_f32_16x16x32_fp8_fp8 v[96:99], a[68:69], v[196:197], v[96:99]// 000000003E78: D3F30060 0D838944
	v_mfma_f32_16x16x32_fp8_fp8 v[96:99], a[70:71], v[198:199], v[96:99]// 000000003E80: D3F30060 0D838D46
	buffer_load_dword v23, v11, s[32:35], 0 offen              // 000000003E88: E0501000 8008170B
	v_mfma_f32_16x16x32_fp8_fp8 v[100:103], a[64:65], v[208:209], 0// 000000003E90: D3F30064 0A03A140
	v_mfma_f32_16x16x32_fp8_fp8 v[100:103], a[66:67], v[210:211], v[100:103]// 000000003E98: D3F30064 0D93A542
	buffer_load_dwordx4 a[4:7], v44, s[24:27], 0 offen offset:1024// 000000003EA0: E05C1400 8086042C
	v_mfma_f32_16x16x32_fp8_fp8 v[100:103], a[68:69], v[212:213], v[100:103]// 000000003EA8: D3F30064 0D93A944
	v_mfma_f32_16x16x32_fp8_fp8 v[100:103], a[70:71], v[214:215], v[100:103]// 000000003EB0: D3F30064 0D93AD46
	v_mfma_f32_16x16x32_fp8_fp8 v[104:107], a[80:81], v[192:193], 0// 000000003EB8: D3F30068 0A038150
	v_mfma_f32_16x16x32_fp8_fp8 v[104:107], a[82:83], v[194:195], v[104:107]// 000000003EC0: D3F30068 0DA38552
	buffer_load_dwordx4 a[16:19], v45, s[24:27], 0 offen       // 000000003EC8: E05C1000 8086102D
	v_mfma_f32_16x16x32_fp8_fp8 v[104:107], a[84:85], v[196:197], v[104:107]// 000000003ED0: D3F30068 0DA38954
	v_mfma_f32_16x16x32_fp8_fp8 v[104:107], a[86:87], v[198:199], v[104:107]// 000000003ED8: D3F30068 0DA38D56
	v_mfma_f32_16x16x32_fp8_fp8 v[108:111], a[80:81], v[208:209], 0// 000000003EE0: D3F3006C 0A03A150
	v_mfma_f32_16x16x32_fp8_fp8 v[108:111], a[82:83], v[210:211], v[108:111]// 000000003EE8: D3F3006C 0DB3A552
	buffer_load_dwordx4 a[20:23], v45, s[24:27], 0 offen offset:1024// 000000003EF0: E05C1400 8086142D
	v_mfma_f32_16x16x32_fp8_fp8 v[108:111], a[84:85], v[212:213], v[108:111]// 000000003EF8: D3F3006C 0DB3A954
	v_mfma_f32_16x16x32_fp8_fp8 v[108:111], a[86:87], v[214:215], v[108:111]// 000000003F00: D3F3006C 0DB3AD56
	v_mfma_f32_16x16x32_fp8_fp8 v[112:115], a[96:97], v[192:193], 0// 000000003F08: D3F30070 0A038160
	v_mfma_f32_16x16x32_fp8_fp8 v[112:115], a[98:99], v[194:195], v[112:115]// 000000003F10: D3F30070 0DC38562
	buffer_load_dwordx4 a[32:35], v46, s[24:27], 0 offen       // 000000003F18: E05C1000 8086202E
	v_mfma_f32_16x16x32_fp8_fp8 v[112:115], a[100:101], v[196:197], v[112:115]// 000000003F20: D3F30070 0DC38964
	v_mfma_f32_16x16x32_fp8_fp8 v[112:115], a[102:103], v[198:199], v[112:115]// 000000003F28: D3F30070 0DC38D66
	v_mfma_f32_16x16x32_fp8_fp8 v[116:119], a[96:97], v[208:209], 0// 000000003F30: D3F30074 0A03A160
	v_mfma_f32_16x16x32_fp8_fp8 v[116:119], a[98:99], v[210:211], v[116:119]// 000000003F38: D3F30074 0DD3A562
	buffer_load_dwordx4 a[36:39], v46, s[24:27], 0 offen offset:1024// 000000003F40: E05C1400 8086242E
	v_mfma_f32_16x16x32_fp8_fp8 v[116:119], a[100:101], v[212:213], v[116:119]// 000000003F48: D3F30074 0DD3A964
	v_mfma_f32_16x16x32_fp8_fp8 v[116:119], a[102:103], v[214:215], v[116:119]// 000000003F50: D3F30074 0DD3AD66
	v_mfma_f32_16x16x32_fp8_fp8 v[120:123], a[112:113], v[192:193], 0// 000000003F58: D3F30078 0A038170
	v_mfma_f32_16x16x32_fp8_fp8 v[120:123], a[114:115], v[194:195], v[120:123]// 000000003F60: D3F30078 0DE38572
	buffer_load_dwordx4 a[48:51], v47, s[24:27], 0 offen       // 000000003F68: E05C1000 8086302F
	v_mfma_f32_16x16x32_fp8_fp8 v[120:123], a[116:117], v[196:197], v[120:123]// 000000003F70: D3F30078 0DE38974
	v_mfma_f32_16x16x32_fp8_fp8 v[120:123], a[118:119], v[198:199], v[120:123]// 000000003F78: D3F30078 0DE38D76
	v_mfma_f32_16x16x32_fp8_fp8 v[124:127], a[112:113], v[208:209], 0// 000000003F80: D3F3007C 0A03A170
	v_mfma_f32_16x16x32_fp8_fp8 v[124:127], a[114:115], v[210:211], v[124:127]// 000000003F88: D3F3007C 0DF3A572
	buffer_load_dwordx4 a[52:55], v47, s[24:27], 0 offen offset:1024// 000000003F90: E05C1400 8086342F
	v_mfma_f32_16x16x32_fp8_fp8 v[124:127], a[116:117], v[212:213], v[124:127]// 000000003F98: D3F3007C 0DF3A974
	v_mfma_f32_16x16x32_fp8_fp8 v[124:127], a[118:119], v[214:215], v[124:127]// 000000003FA0: D3F3007C 0DF3AD76
	v_mul_f32_dpp v56, v24, v15 row_newbcast:0 row_mask:0xf bank_mask:0xf// 000000003FA8: 0A701EFA FF015018
	v_mov_b32_e32 v57, v56                                     // 000000003FB0: 7E720338
	v_pk_fma_f32 v[64:65], v[96:97], v[56:57], v[64:65]        // 000000003FB4: D3B04040 1D027160
	v_pk_fma_f32 v[66:67], v[98:99], v[56:57], v[66:67]        // 000000003FBC: D3B04042 1D0A7162
	v_pk_fma_f32 v[72:73], v[104:105], v[56:57], v[72:73]      // 000000003FC4: D3B04048 1D227168
	v_pk_fma_f32 v[74:75], v[106:107], v[56:57], v[74:75]      // 000000003FCC: D3B0404A 1D2A716A
	v_mul_f32_dpp v56, v24, v15 row_newbcast:1 row_mask:0xf bank_mask:0xf// 000000003FD4: 0A701EFA FF015118
	v_mov_b32_e32 v57, v56                                     // 000000003FDC: 7E720338
	v_pk_fma_f32 v[80:81], v[112:113], v[56:57], v[80:81]      // 000000003FE0: D3B04050 1D427170
	v_pk_fma_f32 v[82:83], v[114:115], v[56:57], v[82:83]      // 000000003FE8: D3B04052 1D4A7172
	v_pk_fma_f32 v[88:89], v[120:121], v[56:57], v[88:89]      // 000000003FF0: D3B04058 1D627178
	v_pk_fma_f32 v[90:91], v[122:123], v[56:57], v[90:91]      // 000000003FF8: D3B0405A 1D6A717A
	v_mul_f32_dpp v56, v24, v16 row_newbcast:0 row_mask:0xf bank_mask:0xf// 000000004000: 0A7020FA FF015018
	v_mov_b32_e32 v57, v56                                     // 000000004008: 7E720338
	v_pk_fma_f32 v[68:69], v[100:101], v[56:57], v[68:69]      // 00000000400C: D3B04044 1D127164
	v_pk_fma_f32 v[70:71], v[102:103], v[56:57], v[70:71]      // 000000004014: D3B04046 1D1A7166
	v_pk_fma_f32 v[76:77], v[108:109], v[56:57], v[76:77]      // 00000000401C: D3B0404C 1D32716C
	v_pk_fma_f32 v[78:79], v[110:111], v[56:57], v[78:79]      // 000000004024: D3B0404E 1D3A716E
	v_mul_f32_dpp v56, v24, v16 row_newbcast:1 row_mask:0xf bank_mask:0xf// 00000000402C: 0A7020FA FF015118
	v_mov_b32_e32 v57, v56                                     // 000000004034: 7E720338
	v_pk_fma_f32 v[84:85], v[116:117], v[56:57], v[84:85]      // 000000004038: D3B04054 1D527174
	v_pk_fma_f32 v[86:87], v[118:119], v[56:57], v[86:87]      // 000000004040: D3B04056 1D5A7176
	v_pk_fma_f32 v[92:93], v[124:125], v[56:57], v[92:93]      // 000000004048: D3B0405C 1D72717C
	v_pk_fma_f32 v[94:95], v[126:127], v[56:57], v[94:95]      // 000000004050: D3B0405E 1D7A717E
	s_waitcnt vmcnt(13)                                        // 000000004058: BF8C0F7D
	v_mfma_f32_16x16x32_fp8_fp8 v[96:99], a[72:73], v[200:201], 0// 00000000405C: D3F30060 0A039148
	v_mfma_f32_16x16x32_fp8_fp8 v[96:99], a[74:75], v[202:203], v[96:99]// 000000004064: D3F30060 0D83954A
	buffer_load_dwordx4 a[8:11], v44, s[24:27], 0 offen offset:2048// 00000000406C: E05C1800 8086082C
	v_mfma_f32_16x16x32_fp8_fp8 v[96:99], a[76:77], v[204:205], v[96:99]// 000000004074: D3F30060 0D83994C
	v_mfma_f32_16x16x32_fp8_fp8 v[96:99], a[78:79], v[206:207], v[96:99]// 00000000407C: D3F30060 0D839D4E
	ds_read_b128 v[224:227], v2 offset:9344                    // 000000004084: D9FE2480 E0000002
	ds_read_b32 v19, v3 offset:17664                           // 00000000408C: D86C4500 13000003
	v_mfma_f32_16x16x32_fp8_fp8 v[100:103], a[72:73], v[216:217], 0// 000000004094: D3F30064 0A03B148
	v_mfma_f32_16x16x32_fp8_fp8 v[100:103], a[74:75], v[218:219], v[100:103]// 00000000409C: D3F30064 0D93B54A
	buffer_load_dwordx4 a[12:15], v44, s[24:27], 0 offen offset:3072// 0000000040A4: E05C1C00 80860C2C
	v_mfma_f32_16x16x32_fp8_fp8 v[100:103], a[76:77], v[220:221], v[100:103]// 0000000040AC: D3F30064 0D93B94C
	v_mfma_f32_16x16x32_fp8_fp8 v[100:103], a[78:79], v[222:223], v[100:103]// 0000000040B4: D3F30064 0D93BD4E
	ds_read_b128 v[228:231], v2 offset:9408                    // 0000000040BC: D9FE24C0 E4000002
	ds_read_b32 v20, v3 offset:17920                           // 0000000040C4: D86C4600 14000003
	v_mfma_f32_16x16x32_fp8_fp8 v[104:107], a[88:89], v[200:201], 0// 0000000040CC: D3F30068 0A039158
	v_mfma_f32_16x16x32_fp8_fp8 v[104:107], a[90:91], v[202:203], v[104:107]// 0000000040D4: D3F30068 0DA3955A
	buffer_load_dwordx4 a[24:27], v45, s[24:27], 0 offen offset:2048// 0000000040DC: E05C1800 8086182D
	v_mfma_f32_16x16x32_fp8_fp8 v[104:107], a[92:93], v[204:205], v[104:107]// 0000000040E4: D3F30068 0DA3995C
	v_mfma_f32_16x16x32_fp8_fp8 v[104:107], a[94:95], v[206:207], v[104:107]// 0000000040EC: D3F30068 0DA39D5E
	ds_read_b128 v[232:235], v2 offset:9472                    // 0000000040F4: D9FE2500 E8000002
	ds_read_b32 v21, v3 offset:18176                           // 0000000040FC: D86C4700 15000003
	v_mfma_f32_16x16x32_fp8_fp8 v[108:111], a[88:89], v[216:217], 0// 000000004104: D3F3006C 0A03B158
	v_mfma_f32_16x16x32_fp8_fp8 v[108:111], a[90:91], v[218:219], v[108:111]// 00000000410C: D3F3006C 0DB3B55A
	buffer_load_dwordx4 a[28:31], v45, s[24:27], 0 offen offset:3072// 000000004114: E05C1C00 80861C2D
	v_mfma_f32_16x16x32_fp8_fp8 v[108:111], a[92:93], v[220:221], v[108:111]// 00000000411C: D3F3006C 0DB3B95C
	v_mfma_f32_16x16x32_fp8_fp8 v[108:111], a[94:95], v[222:223], v[108:111]// 000000004124: D3F3006C 0DB3BD5E
	ds_read_b128 v[236:239], v2 offset:9536                    // 00000000412C: D9FE2540 EC000002
	ds_read_b32 v22, v3 offset:18432                           // 000000004134: D86C4800 16000003
	s_waitcnt vmcnt(13)                                        // 00000000413C: BF8C0F7D
	v_mfma_f32_16x16x32_fp8_fp8 v[112:115], a[104:105], v[200:201], 0// 000000004140: D3F30070 0A039168
	v_mfma_f32_16x16x32_fp8_fp8 v[112:115], a[106:107], v[202:203], v[112:115]// 000000004148: D3F30070 0DC3956A
	buffer_load_dwordx4 a[40:43], v46, s[24:27], 0 offen offset:2048// 000000004150: E05C1800 8086282E
	v_mfma_f32_16x16x32_fp8_fp8 v[112:115], a[108:109], v[204:205], v[112:115]// 000000004158: D3F30070 0DC3996C
	v_mfma_f32_16x16x32_fp8_fp8 v[112:115], a[110:111], v[206:207], v[112:115]// 000000004160: D3F30070 0DC39D6E
	ds_read_b128 v[240:243], v2 offset:10368                   // 000000004168: D9FE2880 F0000002
	v_mfma_f32_16x16x32_fp8_fp8 v[116:119], a[104:105], v[216:217], 0// 000000004170: D3F30074 0A03B168
	v_mfma_f32_16x16x32_fp8_fp8 v[116:119], a[106:107], v[218:219], v[116:119]// 000000004178: D3F30074 0DD3B56A
	buffer_load_dwordx4 a[44:47], v46, s[24:27], 0 offen offset:3072// 000000004180: E05C1C00 80862C2E
	v_mfma_f32_16x16x32_fp8_fp8 v[116:119], a[108:109], v[220:221], v[116:119]// 000000004188: D3F30074 0DD3B96C
	v_mfma_f32_16x16x32_fp8_fp8 v[116:119], a[110:111], v[222:223], v[116:119]// 000000004190: D3F30074 0DD3BD6E
	ds_read_b128 v[244:247], v2 offset:10432                   // 000000004198: D9FE28C0 F4000002
	v_mfma_f32_16x16x32_fp8_fp8 v[120:123], a[120:121], v[200:201], 0// 0000000041A0: D3F30078 0A039178
	v_mfma_f32_16x16x32_fp8_fp8 v[120:123], a[122:123], v[202:203], v[120:123]// 0000000041A8: D3F30078 0DE3957A
	buffer_load_dwordx4 a[56:59], v47, s[24:27], 0 offen offset:2048// 0000000041B0: E05C1800 8086382F
	v_mfma_f32_16x16x32_fp8_fp8 v[120:123], a[124:125], v[204:205], v[120:123]// 0000000041B8: D3F30078 0DE3997C
	v_mfma_f32_16x16x32_fp8_fp8 v[120:123], a[126:127], v[206:207], v[120:123]// 0000000041C0: D3F30078 0DE39D7E
	ds_read_b128 v[248:251], v2 offset:10496                   // 0000000041C8: D9FE2900 F8000002
	v_mfma_f32_16x16x32_fp8_fp8 v[124:127], a[120:121], v[216:217], 0// 0000000041D0: D3F3007C 0A03B178
	v_mfma_f32_16x16x32_fp8_fp8 v[124:127], a[122:123], v[218:219], v[124:127]// 0000000041D8: D3F3007C 0DF3B57A
	buffer_load_dwordx4 a[60:63], v47, s[24:27], 0 offen offset:3072// 0000000041E0: E05C1C00 80863C2F
	v_mfma_f32_16x16x32_fp8_fp8 v[124:127], a[124:125], v[220:221], v[124:127]// 0000000041E8: D3F3007C 0DF3B97C
	v_mfma_f32_16x16x32_fp8_fp8 v[124:127], a[126:127], v[222:223], v[124:127]// 0000000041F0: D3F3007C 0DF3BD7E
	ds_read_b128 v[252:255], v2 offset:10560                   // 0000000041F8: D9FE2940 FC000002
	v_mul_f32_dpp v56, v24, v17 row_newbcast:2 row_mask:0xf bank_mask:0xf// 000000004200: 0A7022FA FF015218
	v_mov_b32_e32 v57, v56                                     // 000000004208: 7E720338
	v_pk_fma_f32 v[64:65], v[96:97], v[56:57], v[64:65]        // 00000000420C: D3B04040 1D027160
	v_pk_fma_f32 v[66:67], v[98:99], v[56:57], v[66:67]        // 000000004214: D3B04042 1D0A7162
	v_pk_fma_f32 v[72:73], v[104:105], v[56:57], v[72:73]      // 00000000421C: D3B04048 1D227168
	v_pk_fma_f32 v[74:75], v[106:107], v[56:57], v[74:75]      // 000000004224: D3B0404A 1D2A716A
	v_mul_f32_dpp v56, v24, v17 row_newbcast:3 row_mask:0xf bank_mask:0xf// 00000000422C: 0A7022FA FF015318
	v_mov_b32_e32 v57, v56                                     // 000000004234: 7E720338
	v_pk_fma_f32 v[80:81], v[112:113], v[56:57], v[80:81]      // 000000004238: D3B04050 1D427170
	v_pk_fma_f32 v[82:83], v[114:115], v[56:57], v[82:83]      // 000000004240: D3B04052 1D4A7172
	v_pk_fma_f32 v[88:89], v[120:121], v[56:57], v[88:89]      // 000000004248: D3B04058 1D627178
	v_pk_fma_f32 v[90:91], v[122:123], v[56:57], v[90:91]      // 000000004250: D3B0405A 1D6A717A
	v_mul_f32_dpp v56, v24, v18 row_newbcast:2 row_mask:0xf bank_mask:0xf// 000000004258: 0A7024FA FF015218
	v_mov_b32_e32 v57, v56                                     // 000000004260: 7E720338
	v_pk_fma_f32 v[68:69], v[100:101], v[56:57], v[68:69]      // 000000004264: D3B04044 1D127164
	v_pk_fma_f32 v[70:71], v[102:103], v[56:57], v[70:71]      // 00000000426C: D3B04046 1D1A7166
	v_pk_fma_f32 v[76:77], v[108:109], v[56:57], v[76:77]      // 000000004274: D3B0404C 1D32716C
	v_pk_fma_f32 v[78:79], v[110:111], v[56:57], v[78:79]      // 00000000427C: D3B0404E 1D3A716E
	v_mul_f32_dpp v56, v24, v18 row_newbcast:3 row_mask:0xf bank_mask:0xf// 000000004284: 0A7024FA FF015318
	v_mov_b32_e32 v57, v56                                     // 00000000428C: 7E720338
	v_pk_fma_f32 v[84:85], v[116:117], v[56:57], v[84:85]      // 000000004290: D3B04054 1D527174
	v_pk_fma_f32 v[86:87], v[118:119], v[56:57], v[86:87]      // 000000004298: D3B04056 1D5A7176
	v_pk_fma_f32 v[92:93], v[124:125], v[56:57], v[92:93]      // 0000000042A0: D3B0405C 1D72717C
	v_pk_fma_f32 v[94:95], v[126:127], v[56:57], v[94:95]      // 0000000042A8: D3B0405E 1D7A717E
	s_add_u32 s60, 0x200, s80                                  // 0000000042B0: 803C50FF 00000200
	s_cmp_lt_u32 s60, s81                                      // 0000000042B8: BF0A513C
	s_cselect_b32 s57, s57, 0                                  // 0000000042BC: 85398039
	s_cselect_b32 s3, s3, 0                                    // 0000000042C0: 85038003
	s_add_u32 s60, 0x200, s80                                  // 0000000042C4: 803C50FF 00000200
	s_cmp_lt_u32 s60, s81                                      // 0000000042CC: BF0A513C
	s_cselect_b32 s58, s58, 0                                  // 0000000042D0: 853A803A
	s_add_u32 s20, s57, s20                                    // 0000000042D4: 80141439
	s_addc_u32 s21, 0, s21                                     // 0000000042D8: 82151580
	s_add_u32 s28, s3, s28                                     // 0000000042DC: 801C1C03
	s_addc_u32 s29, 0, s29                                     // 0000000042E0: 821D1D80
	s_add_u32 s24, s58, s24                                    // 0000000042E4: 8018183A
	s_addc_u32 s25, 0, s25                                     // 0000000042E8: 82191980
	s_add_u32 s92, s90, s92                                    // 0000000042EC: 805C5C5A
	s_addc_u32 s93, 0, s93                                     // 0000000042F0: 825D5D80
	s_addk_i32 s80, 0x100                                      // 0000000042F4: B7500100
	s_cmp_lt_i32 s80, s81                                      // 0000000042F8: BF045150
	s_cbranch_scc0 label_0791                                  // 0000000042FC: BF840251
	s_waitcnt vmcnt(8) lgkmcnt(0)                              // 000000004300: BF8C0078
	s_barrier                                                  // 000000004304: BF8A0000
	v_mfma_f32_16x16x32_fp8_fp8 v[160:163], a[0:1], v[224:225], 0// 000000004308: D3F300A0 0A03C100
	v_mfma_f32_16x16x32_fp8_fp8 v[160:163], a[2:3], v[226:227], v[160:163]// 000000004310: D3F300A0 0E83C502
	buffer_load_dwordx4 a[64:67], v44, s[92:95], 0 offen       // 000000004318: E05C1000 8097402C
	v_mfma_f32_16x16x32_fp8_fp8 v[160:163], a[4:5], v[228:229], v[160:163]// 000000004320: D3F300A0 0E83C904
	v_mfma_f32_16x16x32_fp8_fp8 v[160:163], a[6:7], v[230:231], v[160:163]// 000000004328: D3F300A0 0E83CD06
	buffer_load_dword v36, s[20:23], 0 offen lds               // 000000004330: E0511000 80050024
	s_add_u32 m0, 0x100, s50                                   // 000000004338: 807C32FF 00000100
	v_mfma_f32_16x16x32_fp8_fp8 v[164:167], a[0:1], v[240:241], 0// 000000004340: D3F300A4 0A03E100
	v_mfma_f32_16x16x32_fp8_fp8 v[164:167], a[2:3], v[242:243], v[164:167]// 000000004348: D3F300A4 0E93E502
	buffer_load_dwordx4 a[68:71], v44, s[92:95], 0 offen offset:1024// 000000004350: E05C1400 8097442C
	v_mfma_f32_16x16x32_fp8_fp8 v[164:167], a[4:5], v[244:245], v[164:167]// 000000004358: D3F300A4 0E93E904
	v_mfma_f32_16x16x32_fp8_fp8 v[164:167], a[6:7], v[246:247], v[164:167]// 000000004360: D3F300A4 0E93ED06
	buffer_load_dword v37, s[20:23], 0 offen lds               // 000000004368: E0511000 80050025
	s_add_u32 m0, 0x200, s50                                   // 000000004370: 807C32FF 00000200
	v_mfma_f32_16x16x32_fp8_fp8 v[168:171], a[16:17], v[224:225], 0// 000000004378: D3F300A8 0A03C110
	v_mfma_f32_16x16x32_fp8_fp8 v[168:171], a[18:19], v[226:227], v[168:171]// 000000004380: D3F300A8 0EA3C512
	buffer_load_dwordx4 a[80:83], v45, s[92:95], 0 offen       // 000000004388: E05C1000 8097502D
	v_mfma_f32_16x16x32_fp8_fp8 v[168:171], a[20:21], v[228:229], v[168:171]// 000000004390: D3F300A8 0EA3C914
	v_mfma_f32_16x16x32_fp8_fp8 v[168:171], a[22:23], v[230:231], v[168:171]// 000000004398: D3F300A8 0EA3CD16
	buffer_load_dword v38, s[20:23], 0 offen lds               // 0000000043A0: E0511000 80050026
	s_add_u32 m0, 0x300, s50                                   // 0000000043A8: 807C32FF 00000300
	v_mfma_f32_16x16x32_fp8_fp8 v[172:175], a[16:17], v[240:241], 0// 0000000043B0: D3F300AC 0A03E110
	v_mfma_f32_16x16x32_fp8_fp8 v[172:175], a[18:19], v[242:243], v[172:175]// 0000000043B8: D3F300AC 0EB3E512
	buffer_load_dwordx4 a[84:87], v45, s[92:95], 0 offen offset:1024// 0000000043C0: E05C1400 8097542D
	v_mfma_f32_16x16x32_fp8_fp8 v[172:175], a[20:21], v[244:245], v[172:175]// 0000000043C8: D3F300AC 0EB3E914
	v_mfma_f32_16x16x32_fp8_fp8 v[172:175], a[22:23], v[246:247], v[172:175]// 0000000043D0: D3F300AC 0EB3ED16
	buffer_load_dword v39, s[20:23], 0 offen lds               // 0000000043D8: E0511000 80050027
	s_add_u32 m0, 0x400, s50                                   // 0000000043E0: 807C32FF 00000400
	v_mfma_f32_16x16x32_fp8_fp8 v[176:179], a[32:33], v[224:225], 0// 0000000043E8: D3F300B0 0A03C120
	v_mfma_f32_16x16x32_fp8_fp8 v[176:179], a[34:35], v[226:227], v[176:179]// 0000000043F0: D3F300B0 0EC3C522
	buffer_load_dwordx4 a[96:99], v46, s[92:95], 0 offen       // 0000000043F8: E05C1000 8097602E
	v_mfma_f32_16x16x32_fp8_fp8 v[176:179], a[36:37], v[228:229], v[176:179]// 000000004400: D3F300B0 0EC3C924
	v_mfma_f32_16x16x32_fp8_fp8 v[176:179], a[38:39], v[230:231], v[176:179]// 000000004408: D3F300B0 0EC3CD26
	buffer_load_dword v40, s[20:23], 0 offen lds               // 000000004410: E0511000 80050028
	s_add_u32 m0, 0x500, s50                                   // 000000004418: 807C32FF 00000500
	v_mfma_f32_16x16x32_fp8_fp8 v[180:183], a[32:33], v[240:241], 0// 000000004420: D3F300B4 0A03E120
	v_mfma_f32_16x16x32_fp8_fp8 v[180:183], a[34:35], v[242:243], v[180:183]// 000000004428: D3F300B4 0ED3E522
	buffer_load_dwordx4 a[100:103], v46, s[92:95], 0 offen offset:1024// 000000004430: E05C1400 8097642E
	v_mfma_f32_16x16x32_fp8_fp8 v[180:183], a[36:37], v[244:245], v[180:183]// 000000004438: D3F300B4 0ED3E924
	v_mfma_f32_16x16x32_fp8_fp8 v[180:183], a[38:39], v[246:247], v[180:183]// 000000004440: D3F300B4 0ED3ED26
	buffer_load_dword v41, s[20:23], 0 offen lds               // 000000004448: E0511000 80050029
	s_add_u32 m0, 0x600, s50                                   // 000000004450: 807C32FF 00000600
	v_mfma_f32_16x16x32_fp8_fp8 v[184:187], a[48:49], v[224:225], 0// 000000004458: D3F300B8 0A03C130
	v_mfma_f32_16x16x32_fp8_fp8 v[184:187], a[50:51], v[226:227], v[184:187]// 000000004460: D3F300B8 0EE3C532
	buffer_load_dwordx4 a[112:115], v47, s[92:95], 0 offen     // 000000004468: E05C1000 8097702F
	v_mfma_f32_16x16x32_fp8_fp8 v[184:187], a[52:53], v[228:229], v[184:187]// 000000004470: D3F300B8 0EE3C934
	v_mfma_f32_16x16x32_fp8_fp8 v[184:187], a[54:55], v[230:231], v[184:187]// 000000004478: D3F300B8 0EE3CD36
	buffer_load_dword v42, s[20:23], 0 offen lds               // 000000004480: E0511000 8005002A
	s_add_u32 m0, 0x700, s50                                   // 000000004488: 807C32FF 00000700
	v_mfma_f32_16x16x32_fp8_fp8 v[188:191], a[48:49], v[240:241], 0// 000000004490: D3F300BC 0A03E130
	v_mfma_f32_16x16x32_fp8_fp8 v[188:191], a[50:51], v[242:243], v[188:191]// 000000004498: D3F300BC 0EF3E532
	buffer_load_dwordx4 a[116:119], v47, s[92:95], 0 offen offset:1024// 0000000044A0: E05C1400 8097742F
	v_mfma_f32_16x16x32_fp8_fp8 v[188:191], a[52:53], v[244:245], v[188:191]// 0000000044A8: D3F300BC 0EF3E934
	v_mfma_f32_16x16x32_fp8_fp8 v[188:191], a[54:55], v[246:247], v[188:191]// 0000000044B0: D3F300BC 0EF3ED36
	buffer_load_dword v43, s[20:23], 0 offen lds               // 0000000044B8: E0511000 8005002B
	s_add_u32 m0, s50, s76                                     // 0000000044C0: 807C4C32
	buffer_load_dword v7, s[28:31], 0 offen lds                // 0000000044C4: E0511000 80070007
	s_add_u32 m0, 0, s51                                       // 0000000044CC: 807C3380
	buffer_load_dword v24, v13, s[32:35], 0 offen              // 0000000044D0: E0501000 8008180D
	v_mul_f32_dpp v56, v23, v19 row_newbcast:0 row_mask:0xf bank_mask:0xf// 0000000044D8: 0A7026FA FF015017
	v_mov_b32_e32 v57, v56                                     // 0000000044E0: 7E720338
	v_pk_fma_f32 v[128:129], v[160:161], v[56:57], v[128:129]  // 0000000044E4: D3B04080 1E0271A0
	v_pk_fma_f32 v[130:131], v[162:163], v[56:57], v[130:131]  // 0000000044EC: D3B04082 1E0A71A2
	v_pk_fma_f32 v[136:137], v[168:169], v[56:57], v[136:137]  // 0000000044F4: D3B04088 1E2271A8
	v_pk_fma_f32 v[138:139], v[170:171], v[56:57], v[138:139]  // 0000000044FC: D3B0408A 1E2A71AA
	v_mul_f32_dpp v56, v23, v19 row_newbcast:1 row_mask:0xf bank_mask:0xf// 000000004504: 0A7026FA FF015117
	v_mov_b32_e32 v57, v56                                     // 00000000450C: 7E720338
	v_pk_fma_f32 v[144:145], v[176:177], v[56:57], v[144:145]  // 000000004510: D3B04090 1E4271B0
	v_pk_fma_f32 v[146:147], v[178:179], v[56:57], v[146:147]  // 000000004518: D3B04092 1E4A71B2
	v_pk_fma_f32 v[152:153], v[184:185], v[56:57], v[152:153]  // 000000004520: D3B04098 1E6271B8
	v_pk_fma_f32 v[154:155], v[186:187], v[56:57], v[154:155]  // 000000004528: D3B0409A 1E6A71BA
	v_mul_f32_dpp v56, v23, v20 row_newbcast:0 row_mask:0xf bank_mask:0xf// 000000004530: 0A7028FA FF015017
	v_mov_b32_e32 v57, v56                                     // 000000004538: 7E720338
	v_pk_fma_f32 v[132:133], v[164:165], v[56:57], v[132:133]  // 00000000453C: D3B04084 1E1271A4
	v_pk_fma_f32 v[134:135], v[166:167], v[56:57], v[134:135]  // 000000004544: D3B04086 1E1A71A6
	v_pk_fma_f32 v[140:141], v[172:173], v[56:57], v[140:141]  // 00000000454C: D3B0408C 1E3271AC
	v_pk_fma_f32 v[142:143], v[174:175], v[56:57], v[142:143]  // 000000004554: D3B0408E 1E3A71AE
	v_mul_f32_dpp v56, v23, v20 row_newbcast:1 row_mask:0xf bank_mask:0xf// 00000000455C: 0A7028FA FF015117
	v_mov_b32_e32 v57, v56                                     // 000000004564: 7E720338
	v_pk_fma_f32 v[148:149], v[180:181], v[56:57], v[148:149]  // 000000004568: D3B04094 1E5271B4
	v_pk_fma_f32 v[150:151], v[182:183], v[56:57], v[150:151]  // 000000004570: D3B04096 1E5A71B6
	v_pk_fma_f32 v[156:157], v[188:189], v[56:57], v[156:157]  // 000000004578: D3B0409C 1E7271BC
	v_pk_fma_f32 v[158:159], v[190:191], v[56:57], v[158:159]  // 000000004580: D3B0409E 1E7A71BE
	s_waitcnt vmcnt(22)                                        // 000000004588: BF8C4F76
	v_mfma_f32_16x16x32_fp8_fp8 v[160:163], a[8:9], v[232:233], 0// 00000000458C: D3F300A0 0A03D108
	v_mfma_f32_16x16x32_fp8_fp8 v[160:163], a[10:11], v[234:235], v[160:163]// 000000004594: D3F300A0 0E83D50A
	buffer_load_dwordx4 a[72:75], v44, s[92:95], 0 offen offset:2048// 00000000459C: E05C1800 8097482C
	v_mfma_f32_16x16x32_fp8_fp8 v[160:163], a[12:13], v[236:237], v[160:163]// 0000000045A4: D3F300A0 0E83D90C
	v_mfma_f32_16x16x32_fp8_fp8 v[160:163], a[14:15], v[238:239], v[160:163]// 0000000045AC: D3F300A0 0E83DD0E
	v_mfma_f32_16x16x32_fp8_fp8 v[164:167], a[8:9], v[248:249], 0// 0000000045B4: D3F300A4 0A03F108
	v_mfma_f32_16x16x32_fp8_fp8 v[164:167], a[10:11], v[250:251], v[164:167]// 0000000045BC: D3F300A4 0E93F50A
	buffer_load_dwordx4 a[76:79], v44, s[92:95], 0 offen offset:3072// 0000000045C4: E05C1C00 80974C2C
	v_mfma_f32_16x16x32_fp8_fp8 v[164:167], a[12:13], v[252:253], v[164:167]// 0000000045CC: D3F300A4 0E93F90C
	v_mfma_f32_16x16x32_fp8_fp8 v[164:167], a[14:15], v[254:255], v[164:167]// 0000000045D4: D3F300A4 0E93FD0E
	v_mfma_f32_16x16x32_fp8_fp8 v[168:171], a[24:25], v[232:233], 0// 0000000045DC: D3F300A8 0A03D118
	v_mfma_f32_16x16x32_fp8_fp8 v[168:171], a[26:27], v[234:235], v[168:171]// 0000000045E4: D3F300A8 0EA3D51A
	buffer_load_dwordx4 a[88:91], v45, s[92:95], 0 offen offset:2048// 0000000045EC: E05C1800 8097582D
	v_mfma_f32_16x16x32_fp8_fp8 v[168:171], a[28:29], v[236:237], v[168:171]// 0000000045F4: D3F300A8 0EA3D91C
	v_mfma_f32_16x16x32_fp8_fp8 v[168:171], a[30:31], v[238:239], v[168:171]// 0000000045FC: D3F300A8 0EA3DD1E
	v_mfma_f32_16x16x32_fp8_fp8 v[172:175], a[24:25], v[248:249], 0// 000000004604: D3F300AC 0A03F118
	v_mfma_f32_16x16x32_fp8_fp8 v[172:175], a[26:27], v[250:251], v[172:175]// 00000000460C: D3F300AC 0EB3F51A
	buffer_load_dwordx4 a[92:95], v45, s[92:95], 0 offen offset:3072// 000000004614: E05C1C00 80975C2D
	v_mfma_f32_16x16x32_fp8_fp8 v[172:175], a[28:29], v[252:253], v[172:175]// 00000000461C: D3F300AC 0EB3F91C
	v_mfma_f32_16x16x32_fp8_fp8 v[172:175], a[30:31], v[254:255], v[172:175]// 000000004624: D3F300AC 0EB3FD1E
	s_waitcnt vmcnt(22)                                        // 00000000462C: BF8C4F76
	v_mfma_f32_16x16x32_fp8_fp8 v[176:179], a[40:41], v[232:233], 0// 000000004630: D3F300B0 0A03D128
	v_mfma_f32_16x16x32_fp8_fp8 v[176:179], a[42:43], v[234:235], v[176:179]// 000000004638: D3F300B0 0EC3D52A
	buffer_load_dwordx4 a[104:107], v46, s[92:95], 0 offen offset:2048// 000000004640: E05C1800 8097682E
	v_mfma_f32_16x16x32_fp8_fp8 v[176:179], a[44:45], v[236:237], v[176:179]// 000000004648: D3F300B0 0EC3D92C
	v_mfma_f32_16x16x32_fp8_fp8 v[176:179], a[46:47], v[238:239], v[176:179]// 000000004650: D3F300B0 0EC3DD2E
	v_mfma_f32_16x16x32_fp8_fp8 v[180:183], a[40:41], v[248:249], 0// 000000004658: D3F300B4 0A03F128
	v_mfma_f32_16x16x32_fp8_fp8 v[180:183], a[42:43], v[250:251], v[180:183]// 000000004660: D3F300B4 0ED3F52A
	buffer_load_dwordx4 a[108:111], v46, s[92:95], 0 offen offset:3072// 000000004668: E05C1C00 80976C2E
	v_mfma_f32_16x16x32_fp8_fp8 v[180:183], a[44:45], v[252:253], v[180:183]// 000000004670: D3F300B4 0ED3F92C
	v_mfma_f32_16x16x32_fp8_fp8 v[180:183], a[46:47], v[254:255], v[180:183]// 000000004678: D3F300B4 0ED3FD2E
	v_mfma_f32_16x16x32_fp8_fp8 v[184:187], a[56:57], v[232:233], 0// 000000004680: D3F300B8 0A03D138
	v_mfma_f32_16x16x32_fp8_fp8 v[184:187], a[58:59], v[234:235], v[184:187]// 000000004688: D3F300B8 0EE3D53A
	buffer_load_dwordx4 a[120:123], v47, s[92:95], 0 offen offset:2048// 000000004690: E05C1800 8097782F
	v_mfma_f32_16x16x32_fp8_fp8 v[184:187], a[60:61], v[236:237], v[184:187]// 000000004698: D3F300B8 0EE3D93C
	v_mfma_f32_16x16x32_fp8_fp8 v[184:187], a[62:63], v[238:239], v[184:187]// 0000000046A0: D3F300B8 0EE3DD3E
	v_mfma_f32_16x16x32_fp8_fp8 v[188:191], a[56:57], v[248:249], 0// 0000000046A8: D3F300BC 0A03F138
	v_mfma_f32_16x16x32_fp8_fp8 v[188:191], a[58:59], v[250:251], v[188:191]// 0000000046B0: D3F300BC 0EF3F53A
	buffer_load_dwordx4 a[124:127], v47, s[92:95], 0 offen offset:3072// 0000000046B8: E05C1C00 80977C2F
	v_mfma_f32_16x16x32_fp8_fp8 v[188:191], a[60:61], v[252:253], v[188:191]// 0000000046C0: D3F300BC 0EF3F93C
	v_mfma_f32_16x16x32_fp8_fp8 v[188:191], a[62:63], v[254:255], v[188:191]// 0000000046C8: D3F300BC 0EF3FD3E
	v_mul_f32_dpp v56, v23, v21 row_newbcast:2 row_mask:0xf bank_mask:0xf// 0000000046D0: 0A702AFA FF015217
	v_mov_b32_e32 v57, v56                                     // 0000000046D8: 7E720338
	v_pk_fma_f32 v[128:129], v[160:161], v[56:57], v[128:129]  // 0000000046DC: D3B04080 1E0271A0
	v_pk_fma_f32 v[130:131], v[162:163], v[56:57], v[130:131]  // 0000000046E4: D3B04082 1E0A71A2
	v_pk_fma_f32 v[136:137], v[168:169], v[56:57], v[136:137]  // 0000000046EC: D3B04088 1E2271A8
	v_pk_fma_f32 v[138:139], v[170:171], v[56:57], v[138:139]  // 0000000046F4: D3B0408A 1E2A71AA
	v_mul_f32_dpp v56, v23, v21 row_newbcast:3 row_mask:0xf bank_mask:0xf// 0000000046FC: 0A702AFA FF015317
	v_mov_b32_e32 v57, v56                                     // 000000004704: 7E720338
	v_pk_fma_f32 v[144:145], v[176:177], v[56:57], v[144:145]  // 000000004708: D3B04090 1E4271B0
	v_pk_fma_f32 v[146:147], v[178:179], v[56:57], v[146:147]  // 000000004710: D3B04092 1E4A71B2
	v_pk_fma_f32 v[152:153], v[184:185], v[56:57], v[152:153]  // 000000004718: D3B04098 1E6271B8
	v_pk_fma_f32 v[154:155], v[186:187], v[56:57], v[154:155]  // 000000004720: D3B0409A 1E6A71BA
	v_mul_f32_dpp v56, v23, v22 row_newbcast:2 row_mask:0xf bank_mask:0xf// 000000004728: 0A702CFA FF015217
	v_mov_b32_e32 v57, v56                                     // 000000004730: 7E720338
	v_pk_fma_f32 v[132:133], v[164:165], v[56:57], v[132:133]  // 000000004734: D3B04084 1E1271A4
	v_pk_fma_f32 v[134:135], v[166:167], v[56:57], v[134:135]  // 00000000473C: D3B04086 1E1A71A6
	v_pk_fma_f32 v[140:141], v[172:173], v[56:57], v[140:141]  // 000000004744: D3B0408C 1E3271AC
	v_pk_fma_f32 v[142:143], v[174:175], v[56:57], v[142:143]  // 00000000474C: D3B0408E 1E3A71AE
	v_mul_f32_dpp v56, v23, v22 row_newbcast:3 row_mask:0xf bank_mask:0xf// 000000004754: 0A702CFA FF015317
	v_mov_b32_e32 v57, v56                                     // 00000000475C: 7E720338
	v_pk_fma_f32 v[148:149], v[180:181], v[56:57], v[148:149]  // 000000004760: D3B04094 1E5271B4
	v_pk_fma_f32 v[150:151], v[182:183], v[56:57], v[150:151]  // 000000004768: D3B04096 1E5A71B6
	v_pk_fma_f32 v[156:157], v[188:189], v[56:57], v[156:157]  // 000000004770: D3B0409C 1E7271BC
	v_pk_fma_f32 v[158:159], v[190:191], v[56:57], v[158:159]  // 000000004778: D3B0409E 1E7A71BE
	s_add_u32 s60, 0x100, s80                                  // 000000004780: 803C50FF 00000100
	s_cmp_lt_u32 s60, s81                                      // 000000004788: BF0A513C
	s_cselect_b32 s4, s4, 0                                    // 00000000478C: 85048004
	s_add_u32 s32, s4, s32                                     // 000000004790: 80202004
	s_addc_u32 s33, 0, s33                                     // 000000004794: 82212180
	s_waitcnt vmcnt(8)                                         // 000000004798: BF8C0F78
	s_barrier                                                  // 00000000479C: BF8A0000
	v_mfma_f32_16x16x32_fp8_fp8 v[96:99], a[64:65], v[224:225], 0// 0000000047A0: D3F30060 0A03C140
	v_mfma_f32_16x16x32_fp8_fp8 v[96:99], a[66:67], v[226:227], v[96:99]// 0000000047A8: D3F30060 0D83C542
	buffer_load_dwordx4 a[0:3], v44, s[24:27], 0 offen         // 0000000047B0: E05C1000 8086002C
	v_mfma_f32_16x16x32_fp8_fp8 v[96:99], a[68:69], v[228:229], v[96:99]// 0000000047B8: D3F30060 0D83C944
	v_mfma_f32_16x16x32_fp8_fp8 v[96:99], a[70:71], v[230:231], v[96:99]// 0000000047C0: D3F30060 0D83CD46
	buffer_load_dword v23, v11, s[32:35], 0 offen              // 0000000047C8: E0501000 8008170B
	v_mfma_f32_16x16x32_fp8_fp8 v[100:103], a[64:65], v[240:241], 0// 0000000047D0: D3F30064 0A03E140
	v_mfma_f32_16x16x32_fp8_fp8 v[100:103], a[66:67], v[242:243], v[100:103]// 0000000047D8: D3F30064 0D93E542
	buffer_load_dwordx4 a[4:7], v44, s[24:27], 0 offen offset:1024// 0000000047E0: E05C1400 8086042C
	v_mfma_f32_16x16x32_fp8_fp8 v[100:103], a[68:69], v[244:245], v[100:103]// 0000000047E8: D3F30064 0D93E944
	v_mfma_f32_16x16x32_fp8_fp8 v[100:103], a[70:71], v[246:247], v[100:103]// 0000000047F0: D3F30064 0D93ED46
	v_mfma_f32_16x16x32_fp8_fp8 v[104:107], a[80:81], v[224:225], 0// 0000000047F8: D3F30068 0A03C150
	v_mfma_f32_16x16x32_fp8_fp8 v[104:107], a[82:83], v[226:227], v[104:107]// 000000004800: D3F30068 0DA3C552
	buffer_load_dwordx4 a[16:19], v45, s[24:27], 0 offen       // 000000004808: E05C1000 8086102D
	v_mfma_f32_16x16x32_fp8_fp8 v[104:107], a[84:85], v[228:229], v[104:107]// 000000004810: D3F30068 0DA3C954
	v_mfma_f32_16x16x32_fp8_fp8 v[104:107], a[86:87], v[230:231], v[104:107]// 000000004818: D3F30068 0DA3CD56
	v_mfma_f32_16x16x32_fp8_fp8 v[108:111], a[80:81], v[240:241], 0// 000000004820: D3F3006C 0A03E150
	v_mfma_f32_16x16x32_fp8_fp8 v[108:111], a[82:83], v[242:243], v[108:111]// 000000004828: D3F3006C 0DB3E552
	buffer_load_dwordx4 a[20:23], v45, s[24:27], 0 offen offset:1024// 000000004830: E05C1400 8086142D
	v_mfma_f32_16x16x32_fp8_fp8 v[108:111], a[84:85], v[244:245], v[108:111]// 000000004838: D3F3006C 0DB3E954
	v_mfma_f32_16x16x32_fp8_fp8 v[108:111], a[86:87], v[246:247], v[108:111]// 000000004840: D3F3006C 0DB3ED56
	v_mfma_f32_16x16x32_fp8_fp8 v[112:115], a[96:97], v[224:225], 0// 000000004848: D3F30070 0A03C160
	v_mfma_f32_16x16x32_fp8_fp8 v[112:115], a[98:99], v[226:227], v[112:115]// 000000004850: D3F30070 0DC3C562
	buffer_load_dwordx4 a[32:35], v46, s[24:27], 0 offen       // 000000004858: E05C1000 8086202E
	v_mfma_f32_16x16x32_fp8_fp8 v[112:115], a[100:101], v[228:229], v[112:115]// 000000004860: D3F30070 0DC3C964
	v_mfma_f32_16x16x32_fp8_fp8 v[112:115], a[102:103], v[230:231], v[112:115]// 000000004868: D3F30070 0DC3CD66
	v_mfma_f32_16x16x32_fp8_fp8 v[116:119], a[96:97], v[240:241], 0// 000000004870: D3F30074 0A03E160
	v_mfma_f32_16x16x32_fp8_fp8 v[116:119], a[98:99], v[242:243], v[116:119]// 000000004878: D3F30074 0DD3E562
	buffer_load_dwordx4 a[36:39], v46, s[24:27], 0 offen offset:1024// 000000004880: E05C1400 8086242E
	v_mfma_f32_16x16x32_fp8_fp8 v[116:119], a[100:101], v[244:245], v[116:119]// 000000004888: D3F30074 0DD3E964
	v_mfma_f32_16x16x32_fp8_fp8 v[116:119], a[102:103], v[246:247], v[116:119]// 000000004890: D3F30074 0DD3ED66
	v_mfma_f32_16x16x32_fp8_fp8 v[120:123], a[112:113], v[224:225], 0// 000000004898: D3F30078 0A03C170
	v_mfma_f32_16x16x32_fp8_fp8 v[120:123], a[114:115], v[226:227], v[120:123]// 0000000048A0: D3F30078 0DE3C572
	buffer_load_dwordx4 a[48:51], v47, s[24:27], 0 offen       // 0000000048A8: E05C1000 8086302F
	v_mfma_f32_16x16x32_fp8_fp8 v[120:123], a[116:117], v[228:229], v[120:123]// 0000000048B0: D3F30078 0DE3C974
	v_mfma_f32_16x16x32_fp8_fp8 v[120:123], a[118:119], v[230:231], v[120:123]// 0000000048B8: D3F30078 0DE3CD76
	v_mfma_f32_16x16x32_fp8_fp8 v[124:127], a[112:113], v[240:241], 0// 0000000048C0: D3F3007C 0A03E170
	v_mfma_f32_16x16x32_fp8_fp8 v[124:127], a[114:115], v[242:243], v[124:127]// 0000000048C8: D3F3007C 0DF3E572
	buffer_load_dwordx4 a[52:55], v47, s[24:27], 0 offen offset:1024// 0000000048D0: E05C1400 8086342F
	v_mfma_f32_16x16x32_fp8_fp8 v[124:127], a[116:117], v[244:245], v[124:127]// 0000000048D8: D3F3007C 0DF3E974
	v_mfma_f32_16x16x32_fp8_fp8 v[124:127], a[118:119], v[246:247], v[124:127]// 0000000048E0: D3F3007C 0DF3ED76
	v_mul_f32_dpp v56, v24, v19 row_newbcast:0 row_mask:0xf bank_mask:0xf// 0000000048E8: 0A7026FA FF015018
	v_mov_b32_e32 v57, v56                                     // 0000000048F0: 7E720338
	v_pk_fma_f32 v[64:65], v[96:97], v[56:57], v[64:65]        // 0000000048F4: D3B04040 1D027160
	v_pk_fma_f32 v[66:67], v[98:99], v[56:57], v[66:67]        // 0000000048FC: D3B04042 1D0A7162
	v_pk_fma_f32 v[72:73], v[104:105], v[56:57], v[72:73]      // 000000004904: D3B04048 1D227168
	v_pk_fma_f32 v[74:75], v[106:107], v[56:57], v[74:75]      // 00000000490C: D3B0404A 1D2A716A
	v_mul_f32_dpp v56, v24, v19 row_newbcast:1 row_mask:0xf bank_mask:0xf// 000000004914: 0A7026FA FF015118
	v_mov_b32_e32 v57, v56                                     // 00000000491C: 7E720338
	v_pk_fma_f32 v[80:81], v[112:113], v[56:57], v[80:81]      // 000000004920: D3B04050 1D427170
	v_pk_fma_f32 v[82:83], v[114:115], v[56:57], v[82:83]      // 000000004928: D3B04052 1D4A7172
	v_pk_fma_f32 v[88:89], v[120:121], v[56:57], v[88:89]      // 000000004930: D3B04058 1D627178
	v_pk_fma_f32 v[90:91], v[122:123], v[56:57], v[90:91]      // 000000004938: D3B0405A 1D6A717A
	v_mul_f32_dpp v56, v24, v20 row_newbcast:0 row_mask:0xf bank_mask:0xf// 000000004940: 0A7028FA FF015018
	v_mov_b32_e32 v57, v56                                     // 000000004948: 7E720338
	v_pk_fma_f32 v[68:69], v[100:101], v[56:57], v[68:69]      // 00000000494C: D3B04044 1D127164
	v_pk_fma_f32 v[70:71], v[102:103], v[56:57], v[70:71]      // 000000004954: D3B04046 1D1A7166
	v_pk_fma_f32 v[76:77], v[108:109], v[56:57], v[76:77]      // 00000000495C: D3B0404C 1D32716C
	v_pk_fma_f32 v[78:79], v[110:111], v[56:57], v[78:79]      // 000000004964: D3B0404E 1D3A716E
	v_mul_f32_dpp v56, v24, v20 row_newbcast:1 row_mask:0xf bank_mask:0xf// 00000000496C: 0A7028FA FF015118
	v_mov_b32_e32 v57, v56                                     // 000000004974: 7E720338
	v_pk_fma_f32 v[84:85], v[116:117], v[56:57], v[84:85]      // 000000004978: D3B04054 1D527174
	v_pk_fma_f32 v[86:87], v[118:119], v[56:57], v[86:87]      // 000000004980: D3B04056 1D5A7176
	v_pk_fma_f32 v[92:93], v[124:125], v[56:57], v[92:93]      // 000000004988: D3B0405C 1D72717C
	v_pk_fma_f32 v[94:95], v[126:127], v[56:57], v[94:95]      // 000000004990: D3B0405E 1D7A717E
	s_waitcnt vmcnt(13)                                        // 000000004998: BF8C0F7D
	v_mfma_f32_16x16x32_fp8_fp8 v[96:99], a[72:73], v[232:233], 0// 00000000499C: D3F30060 0A03D148
	v_mfma_f32_16x16x32_fp8_fp8 v[96:99], a[74:75], v[234:235], v[96:99]// 0000000049A4: D3F30060 0D83D54A
	buffer_load_dwordx4 a[8:11], v44, s[24:27], 0 offen offset:2048// 0000000049AC: E05C1800 8086082C
	v_mfma_f32_16x16x32_fp8_fp8 v[96:99], a[76:77], v[236:237], v[96:99]// 0000000049B4: D3F30060 0D83D94C
	v_mfma_f32_16x16x32_fp8_fp8 v[96:99], a[78:79], v[238:239], v[96:99]// 0000000049BC: D3F30060 0D83DD4E
	ds_read_b128 v[192:195], v2                                // 0000000049C4: D9FE0000 C0000002
	ds_read_b32 v15, v3 offset:8320                            // 0000000049CC: D86C2080 0F000003
	v_mfma_f32_16x16x32_fp8_fp8 v[100:103], a[72:73], v[248:249], 0// 0000000049D4: D3F30064 0A03F148
	v_mfma_f32_16x16x32_fp8_fp8 v[100:103], a[74:75], v[250:251], v[100:103]// 0000000049DC: D3F30064 0D93F54A
	buffer_load_dwordx4 a[12:15], v44, s[24:27], 0 offen offset:3072// 0000000049E4: E05C1C00 80860C2C
	v_mfma_f32_16x16x32_fp8_fp8 v[100:103], a[76:77], v[252:253], v[100:103]// 0000000049EC: D3F30064 0D93F94C
	v_mfma_f32_16x16x32_fp8_fp8 v[100:103], a[78:79], v[254:255], v[100:103]// 0000000049F4: D3F30064 0D93FD4E
	ds_read_b128 v[196:199], v2 offset:64                      // 0000000049FC: D9FE0040 C4000002
	ds_read_b32 v16, v3 offset:8576                            // 000000004A04: D86C2180 10000003
	v_mfma_f32_16x16x32_fp8_fp8 v[104:107], a[88:89], v[232:233], 0// 000000004A0C: D3F30068 0A03D158
	v_mfma_f32_16x16x32_fp8_fp8 v[104:107], a[90:91], v[234:235], v[104:107]// 000000004A14: D3F30068 0DA3D55A
	buffer_load_dwordx4 a[24:27], v45, s[24:27], 0 offen offset:2048// 000000004A1C: E05C1800 8086182D
	v_mfma_f32_16x16x32_fp8_fp8 v[104:107], a[92:93], v[236:237], v[104:107]// 000000004A24: D3F30068 0DA3D95C
	v_mfma_f32_16x16x32_fp8_fp8 v[104:107], a[94:95], v[238:239], v[104:107]// 000000004A2C: D3F30068 0DA3DD5E
	ds_read_b128 v[200:203], v2 offset:128                     // 000000004A34: D9FE0080 C8000002
	ds_read_b32 v17, v3 offset:8832                            // 000000004A3C: D86C2280 11000003
	v_mfma_f32_16x16x32_fp8_fp8 v[108:111], a[88:89], v[248:249], 0// 000000004A44: D3F3006C 0A03F158
	v_mfma_f32_16x16x32_fp8_fp8 v[108:111], a[90:91], v[250:251], v[108:111]// 000000004A4C: D3F3006C 0DB3F55A
	buffer_load_dwordx4 a[28:31], v45, s[24:27], 0 offen offset:3072// 000000004A54: E05C1C00 80861C2D
	v_mfma_f32_16x16x32_fp8_fp8 v[108:111], a[92:93], v[252:253], v[108:111]// 000000004A5C: D3F3006C 0DB3F95C
	v_mfma_f32_16x16x32_fp8_fp8 v[108:111], a[94:95], v[254:255], v[108:111]// 000000004A64: D3F3006C 0DB3FD5E
	ds_read_b128 v[204:207], v2 offset:192                     // 000000004A6C: D9FE00C0 CC000002
	ds_read_b32 v18, v3 offset:9088                            // 000000004A74: D86C2380 12000003
	s_waitcnt vmcnt(13)                                        // 000000004A7C: BF8C0F7D
	v_mfma_f32_16x16x32_fp8_fp8 v[112:115], a[104:105], v[232:233], 0// 000000004A80: D3F30070 0A03D168
	v_mfma_f32_16x16x32_fp8_fp8 v[112:115], a[106:107], v[234:235], v[112:115]// 000000004A88: D3F30070 0DC3D56A
	buffer_load_dwordx4 a[40:43], v46, s[24:27], 0 offen offset:2048// 000000004A90: E05C1800 8086282E
	v_mfma_f32_16x16x32_fp8_fp8 v[112:115], a[108:109], v[236:237], v[112:115]// 000000004A98: D3F30070 0DC3D96C
	v_mfma_f32_16x16x32_fp8_fp8 v[112:115], a[110:111], v[238:239], v[112:115]// 000000004AA0: D3F30070 0DC3DD6E
	ds_read_b128 v[208:211], v2 offset:1024                    // 000000004AA8: D9FE0400 D0000002
	v_mfma_f32_16x16x32_fp8_fp8 v[116:119], a[104:105], v[248:249], 0// 000000004AB0: D3F30074 0A03F168
	v_mfma_f32_16x16x32_fp8_fp8 v[116:119], a[106:107], v[250:251], v[116:119]// 000000004AB8: D3F30074 0DD3F56A
	buffer_load_dwordx4 a[44:47], v46, s[24:27], 0 offen offset:3072// 000000004AC0: E05C1C00 80862C2E
	v_mfma_f32_16x16x32_fp8_fp8 v[116:119], a[108:109], v[252:253], v[116:119]// 000000004AC8: D3F30074 0DD3F96C
	v_mfma_f32_16x16x32_fp8_fp8 v[116:119], a[110:111], v[254:255], v[116:119]// 000000004AD0: D3F30074 0DD3FD6E
	ds_read_b128 v[212:215], v2 offset:1088                    // 000000004AD8: D9FE0440 D4000002
	v_mfma_f32_16x16x32_fp8_fp8 v[120:123], a[120:121], v[232:233], 0// 000000004AE0: D3F30078 0A03D178
	v_mfma_f32_16x16x32_fp8_fp8 v[120:123], a[122:123], v[234:235], v[120:123]// 000000004AE8: D3F30078 0DE3D57A
	buffer_load_dwordx4 a[56:59], v47, s[24:27], 0 offen offset:2048// 000000004AF0: E05C1800 8086382F
	v_mfma_f32_16x16x32_fp8_fp8 v[120:123], a[124:125], v[236:237], v[120:123]// 000000004AF8: D3F30078 0DE3D97C
	v_mfma_f32_16x16x32_fp8_fp8 v[120:123], a[126:127], v[238:239], v[120:123]// 000000004B00: D3F30078 0DE3DD7E
	ds_read_b128 v[216:219], v2 offset:1152                    // 000000004B08: D9FE0480 D8000002
	v_mfma_f32_16x16x32_fp8_fp8 v[124:127], a[120:121], v[248:249], 0// 000000004B10: D3F3007C 0A03F178
	v_mfma_f32_16x16x32_fp8_fp8 v[124:127], a[122:123], v[250:251], v[124:127]// 000000004B18: D3F3007C 0DF3F57A
	buffer_load_dwordx4 a[60:63], v47, s[24:27], 0 offen offset:3072// 000000004B20: E05C1C00 80863C2F
	v_mfma_f32_16x16x32_fp8_fp8 v[124:127], a[124:125], v[252:253], v[124:127]// 000000004B28: D3F3007C 0DF3F97C
	v_mfma_f32_16x16x32_fp8_fp8 v[124:127], a[126:127], v[254:255], v[124:127]// 000000004B30: D3F3007C 0DF3FD7E
	ds_read_b128 v[220:223], v2 offset:1216                    // 000000004B38: D9FE04C0 DC000002
	v_mul_f32_dpp v56, v24, v21 row_newbcast:2 row_mask:0xf bank_mask:0xf// 000000004B40: 0A702AFA FF015218
	v_mov_b32_e32 v57, v56                                     // 000000004B48: 7E720338
	v_pk_fma_f32 v[64:65], v[96:97], v[56:57], v[64:65]        // 000000004B4C: D3B04040 1D027160
	v_pk_fma_f32 v[66:67], v[98:99], v[56:57], v[66:67]        // 000000004B54: D3B04042 1D0A7162
	v_pk_fma_f32 v[72:73], v[104:105], v[56:57], v[72:73]      // 000000004B5C: D3B04048 1D227168
	v_pk_fma_f32 v[74:75], v[106:107], v[56:57], v[74:75]      // 000000004B64: D3B0404A 1D2A716A
	v_mul_f32_dpp v56, v24, v21 row_newbcast:3 row_mask:0xf bank_mask:0xf// 000000004B6C: 0A702AFA FF015318
	v_mov_b32_e32 v57, v56                                     // 000000004B74: 7E720338
	v_pk_fma_f32 v[80:81], v[112:113], v[56:57], v[80:81]      // 000000004B78: D3B04050 1D427170
	v_pk_fma_f32 v[82:83], v[114:115], v[56:57], v[82:83]      // 000000004B80: D3B04052 1D4A7172
	v_pk_fma_f32 v[88:89], v[120:121], v[56:57], v[88:89]      // 000000004B88: D3B04058 1D627178
	v_pk_fma_f32 v[90:91], v[122:123], v[56:57], v[90:91]      // 000000004B90: D3B0405A 1D6A717A
	v_mul_f32_dpp v56, v24, v22 row_newbcast:2 row_mask:0xf bank_mask:0xf// 000000004B98: 0A702CFA FF015218
	v_mov_b32_e32 v57, v56                                     // 000000004BA0: 7E720338
	v_pk_fma_f32 v[68:69], v[100:101], v[56:57], v[68:69]      // 000000004BA4: D3B04044 1D127164
	v_pk_fma_f32 v[70:71], v[102:103], v[56:57], v[70:71]      // 000000004BAC: D3B04046 1D1A7166
	v_pk_fma_f32 v[76:77], v[108:109], v[56:57], v[76:77]      // 000000004BB4: D3B0404C 1D32716C
	v_pk_fma_f32 v[78:79], v[110:111], v[56:57], v[78:79]      // 000000004BBC: D3B0404E 1D3A716E
	v_mul_f32_dpp v56, v24, v22 row_newbcast:3 row_mask:0xf bank_mask:0xf// 000000004BC4: 0A702CFA FF015318
	v_mov_b32_e32 v57, v56                                     // 000000004BCC: 7E720338
	v_pk_fma_f32 v[84:85], v[116:117], v[56:57], v[84:85]      // 000000004BD0: D3B04054 1D527174
	v_pk_fma_f32 v[86:87], v[118:119], v[56:57], v[86:87]      // 000000004BD8: D3B04056 1D5A7176
	v_pk_fma_f32 v[92:93], v[124:125], v[56:57], v[92:93]      // 000000004BE0: D3B0405C 1D72717C
	v_pk_fma_f32 v[94:95], v[126:127], v[56:57], v[94:95]      // 000000004BE8: D3B0405E 1D7A717E
	s_add_u32 s60, 0x200, s80                                  // 000000004BF0: 803C50FF 00000200
	s_cmp_lt_u32 s60, s81                                      // 000000004BF8: BF0A513C
	s_cselect_b32 s57, s57, 0                                  // 000000004BFC: 85398039
	s_cselect_b32 s3, s3, 0                                    // 000000004C00: 85038003
	s_add_u32 s60, 0x200, s80                                  // 000000004C04: 803C50FF 00000200
	s_cmp_lt_u32 s60, s81                                      // 000000004C0C: BF0A513C
	s_cselect_b32 s58, s58, 0                                  // 000000004C10: 853A803A
	s_add_u32 s20, s57, s20                                    // 000000004C14: 80141439
	s_addc_u32 s21, 0, s21                                     // 000000004C18: 82151580
	s_add_u32 s28, s3, s28                                     // 000000004C1C: 801C1C03
	s_addc_u32 s29, 0, s29                                     // 000000004C20: 821D1D80
	s_add_u32 s24, s58, s24                                    // 000000004C24: 8018183A
	s_addc_u32 s25, 0, s25                                     // 000000004C28: 82191980
	s_add_u32 s92, s90, s92                                    // 000000004C2C: 805C5C5A
	s_addc_u32 s93, 0, s93                                     // 000000004C30: 825D5D80
	s_addk_i32 s80, 0x100                                      // 000000004C34: B7500100
	s_cmp_lt_i32 s80, s81                                      // 000000004C38: BF045150
	s_cbranch_scc0 label_0791                                  // 000000004C3C: BF840001
	s_branch label_02F0                                        // 000000004C40: BF82FB5F

0000000000004c44 <label_0791>:
	s_mov_b32 s36, -1                                          // 000000004C44: BEA400C1
	s_mov_b32 s37, -1                                          // 000000004C48: BEA500C1
	s_mov_b64 s[60:61], 0                                      // 000000004C4C: BEBC0180
	s_cmp_lt_u32 s82, s66                                      // 000000004C50: BF0A4252
	s_cselect_b64 s[20:21], s[36:37], s[60:61]                 // 000000004C54: 85943C24
	s_cmp_lt_u32 s83, s66                                      // 000000004C58: BF0A4253
	s_cselect_b64 s[22:23], s[36:37], s[60:61]                 // 000000004C5C: 85963C24
	s_cmp_lt_u32 s84, s66                                      // 000000004C60: BF0A4254
	s_cselect_b64 s[24:25], s[36:37], s[60:61]                 // 000000004C64: 85983C24
	s_cmp_lt_u32 s85, s66                                      // 000000004C68: BF0A4255
	s_cselect_b64 s[26:27], s[36:37], s[60:61]                 // 000000004C6C: 859A3C24
	s_cmp_lt_u32 s86, s66                                      // 000000004C70: BF0A4256
	s_cselect_b64 s[28:29], s[36:37], s[60:61]                 // 000000004C74: 859C3C24
	s_cmp_lt_u32 s87, s66                                      // 000000004C78: BF0A4257
	s_cselect_b64 s[30:31], s[36:37], s[60:61]                 // 000000004C7C: 859E3C24
	s_cmp_lt_u32 s88, s66                                      // 000000004C80: BF0A4258
	s_cselect_b64 s[32:33], s[36:37], s[60:61]                 // 000000004C84: 85A03C24
	s_cmp_lt_u32 s89, s66                                      // 000000004C88: BF0A4259
	s_cselect_b64 s[34:35], s[36:37], s[60:61]                 // 000000004C8C: 85A23C24
	s_waitcnt vmcnt(12)                                        // 000000004C90: BF8C0F7C
	buffer_load_dwordx4 a[0:3], v48, s[12:15], 0 offen         // 000000004C94: E05C1000 80830030
	v_mul_f32_e32 v56, v128, v128                              // 000000004C9C: 0A710180
	v_mul_f32_e32 v57, v129, v129                              // 000000004CA0: 0A730381
	v_mul_f32_e32 v58, v130, v130                              // 000000004CA4: 0A750582
	v_mul_f32_e32 v59, v131, v131                              // 000000004CA8: 0A770783
	v_fma_f32 v56, v56, s77, v1                                // 000000004CAC: D1CB0038 04049B38
	v_fma_f32 v57, v57, s77, v1                                // 000000004CB4: D1CB0039 04049B39
	v_fma_f32 v58, v58, s77, v1                                // 000000004CBC: D1CB003A 04049B3A
	v_fma_f32 v59, v59, s77, v1                                // 000000004CC4: D1CB003B 04049B3B
	v_mul_f32_e32 v56, v56, v128                               // 000000004CCC: 0A710138
	v_mul_f32_e32 v57, v57, v129                               // 000000004CD0: 0A730339
	v_mul_f32_e32 v58, v58, v130                               // 000000004CD4: 0A75053A
	v_mul_f32_e32 v59, v59, v131                               // 000000004CD8: 0A77073B
	v_mul_f32_e64 v56, v56, s6                                 // 000000004CDC: D1050038 00000D38
	v_mul_f32_e64 v57, v57, s6                                 // 000000004CE4: D1050039 00000D39
	v_mul_f32_e64 v58, v58, s6                                 // 000000004CEC: D105003A 00000D3A
	v_mul_f32_e64 v59, v59, s6                                 // 000000004CF4: D105003B 00000D3B
	v_exp_f32_e32 v56, v56                                     // 000000004CFC: 7E704138
	v_exp_f32_e32 v57, v57                                     // 000000004D00: 7E724139
	v_exp_f32_e32 v58, v58                                     // 000000004D04: 7E74413A
	v_exp_f32_e32 v59, v59                                     // 000000004D08: 7E76413B
	buffer_load_dwordx4 a[4:7], v49, s[12:15], 0 offen         // 000000004D0C: E05C1000 80830431
	v_add_f32_e64 v56, v56, 1.0                                // 000000004D14: D1010038 0001E538
	v_add_f32_e64 v57, v57, 1.0                                // 000000004D1C: D1010039 0001E539
	v_add_f32_e64 v58, v58, 1.0                                // 000000004D24: D101003A 0001E53A
	v_add_f32_e64 v59, v59, 1.0                                // 000000004D2C: D101003B 0001E53B
	v_rcp_f32_e32 v56, v56                                     // 000000004D34: 7E704538
	v_rcp_f32_e32 v57, v57                                     // 000000004D38: 7E724539
	v_rcp_f32_e32 v58, v58                                     // 000000004D3C: 7E74453A
	v_rcp_f32_e32 v59, v59                                     // 000000004D40: 7E76453B
	v_mul_f32_e32 v128, v128, v56                              // 000000004D44: 0B007180
	v_mul_f32_e32 v129, v129, v57                              // 000000004D48: 0B027381
	v_mul_f32_e32 v130, v130, v58                              // 000000004D4C: 0B047582
	v_mul_f32_e32 v131, v131, v59                              // 000000004D50: 0B067783
	v_mul_f32_e32 v128, v128, v64                              // 000000004D54: 0B008180
	v_mul_f32_e32 v129, v129, v65                              // 000000004D58: 0B028381
	v_mul_f32_e32 v130, v130, v66                              // 000000004D5C: 0B048582
	v_mul_f32_e32 v131, v131, v67                              // 000000004D60: 0B068783
	buffer_load_dwordx4 a[8:11], v50, s[12:15], 0 offen        // 000000004D64: E05C1000 80830832
	v_mul_f32_e32 v56, v132, v132                              // 000000004D6C: 0A710984
	v_mul_f32_e32 v57, v133, v133                              // 000000004D70: 0A730B85
	v_mul_f32_e32 v58, v134, v134                              // 000000004D74: 0A750D86
	v_mul_f32_e32 v59, v135, v135                              // 000000004D78: 0A770F87
	v_fma_f32 v56, v56, s77, v1                                // 000000004D7C: D1CB0038 04049B38
	v_fma_f32 v57, v57, s77, v1                                // 000000004D84: D1CB0039 04049B39
	v_fma_f32 v58, v58, s77, v1                                // 000000004D8C: D1CB003A 04049B3A
	v_fma_f32 v59, v59, s77, v1                                // 000000004D94: D1CB003B 04049B3B
	v_mul_f32_e32 v56, v56, v132                               // 000000004D9C: 0A710938
	v_mul_f32_e32 v57, v57, v133                               // 000000004DA0: 0A730B39
	v_mul_f32_e32 v58, v58, v134                               // 000000004DA4: 0A750D3A
	v_mul_f32_e32 v59, v59, v135                               // 000000004DA8: 0A770F3B
	v_mul_f32_e64 v56, v56, s6                                 // 000000004DAC: D1050038 00000D38
	v_mul_f32_e64 v57, v57, s6                                 // 000000004DB4: D1050039 00000D39
	v_mul_f32_e64 v58, v58, s6                                 // 000000004DBC: D105003A 00000D3A
	v_mul_f32_e64 v59, v59, s6                                 // 000000004DC4: D105003B 00000D3B
	v_exp_f32_e32 v56, v56                                     // 000000004DCC: 7E704138
	v_exp_f32_e32 v57, v57                                     // 000000004DD0: 7E724139
	v_exp_f32_e32 v58, v58                                     // 000000004DD4: 7E74413A
	v_exp_f32_e32 v59, v59                                     // 000000004DD8: 7E76413B
	buffer_load_dwordx4 a[12:15], v51, s[12:15], 0 offen       // 000000004DDC: E05C1000 80830C33
	s_add_u32 s12, s78, s12                                    // 000000004DE4: 800C0C4E
	s_addc_u32 s13, 0, s13                                     // 000000004DE8: 820D0D80
	v_add_f32_e64 v56, v56, 1.0                                // 000000004DEC: D1010038 0001E538
	v_add_f32_e64 v57, v57, 1.0                                // 000000004DF4: D1010039 0001E539
	v_add_f32_e64 v58, v58, 1.0                                // 000000004DFC: D101003A 0001E53A
	v_add_f32_e64 v59, v59, 1.0                                // 000000004E04: D101003B 0001E53B
	v_rcp_f32_e32 v56, v56                                     // 000000004E0C: 7E704538
	v_rcp_f32_e32 v57, v57                                     // 000000004E10: 7E724539
	v_rcp_f32_e32 v58, v58                                     // 000000004E14: 7E74453A
	v_rcp_f32_e32 v59, v59                                     // 000000004E18: 7E76453B
	v_mul_f32_e32 v132, v132, v56                              // 000000004E1C: 0B087184
	v_mul_f32_e32 v133, v133, v57                              // 000000004E20: 0B0A7385
	v_mul_f32_e32 v134, v134, v58                              // 000000004E24: 0B0C7586
	v_mul_f32_e32 v135, v135, v59                              // 000000004E28: 0B0E7787
	v_mul_f32_e32 v132, v132, v68                              // 000000004E2C: 0B088984
	v_mul_f32_e32 v133, v133, v69                              // 000000004E30: 0B0A8B85
	v_mul_f32_e32 v134, v134, v70                              // 000000004E34: 0B0C8D86
	v_mul_f32_e32 v135, v135, v71                              // 000000004E38: 0B0E8F87
	s_waitcnt vmcnt(12)                                        // 000000004E3C: BF8C0F7C
	buffer_load_dwordx4 a[16:19], v48, s[12:15], 0 offen       // 000000004E40: E05C1000 80831030
	v_mul_f32_e32 v56, v136, v136                              // 000000004E48: 0A711188
	v_mul_f32_e32 v57, v137, v137                              // 000000004E4C: 0A731389
	v_mul_f32_e32 v58, v138, v138                              // 000000004E50: 0A75158A
	v_mul_f32_e32 v59, v139, v139                              // 000000004E54: 0A77178B
	v_fma_f32 v56, v56, s77, v1                                // 000000004E58: D1CB0038 04049B38
	v_fma_f32 v57, v57, s77, v1                                // 000000004E60: D1CB0039 04049B39
	v_fma_f32 v58, v58, s77, v1                                // 000000004E68: D1CB003A 04049B3A
	v_fma_f32 v59, v59, s77, v1                                // 000000004E70: D1CB003B 04049B3B
	v_mul_f32_e32 v56, v56, v136                               // 000000004E78: 0A711138
	v_mul_f32_e32 v57, v57, v137                               // 000000004E7C: 0A731339
	v_mul_f32_e32 v58, v58, v138                               // 000000004E80: 0A75153A
	v_mul_f32_e32 v59, v59, v139                               // 000000004E84: 0A77173B
	v_mul_f32_e64 v56, v56, s6                                 // 000000004E88: D1050038 00000D38
	v_mul_f32_e64 v57, v57, s6                                 // 000000004E90: D1050039 00000D39
	v_mul_f32_e64 v58, v58, s6                                 // 000000004E98: D105003A 00000D3A
	v_mul_f32_e64 v59, v59, s6                                 // 000000004EA0: D105003B 00000D3B
	v_exp_f32_e32 v56, v56                                     // 000000004EA8: 7E704138
	v_exp_f32_e32 v57, v57                                     // 000000004EAC: 7E724139
	v_exp_f32_e32 v58, v58                                     // 000000004EB0: 7E74413A
	v_exp_f32_e32 v59, v59                                     // 000000004EB4: 7E76413B
	buffer_load_dwordx4 a[20:23], v49, s[12:15], 0 offen       // 000000004EB8: E05C1000 80831431
	v_add_f32_e64 v56, v56, 1.0                                // 000000004EC0: D1010038 0001E538
	v_add_f32_e64 v57, v57, 1.0                                // 000000004EC8: D1010039 0001E539
	v_add_f32_e64 v58, v58, 1.0                                // 000000004ED0: D101003A 0001E53A
	v_add_f32_e64 v59, v59, 1.0                                // 000000004ED8: D101003B 0001E53B
	v_rcp_f32_e32 v56, v56                                     // 000000004EE0: 7E704538
	v_rcp_f32_e32 v57, v57                                     // 000000004EE4: 7E724539
	v_rcp_f32_e32 v58, v58                                     // 000000004EE8: 7E74453A
	v_rcp_f32_e32 v59, v59                                     // 000000004EEC: 7E76453B
	v_mul_f32_e32 v136, v136, v56                              // 000000004EF0: 0B107188
	v_mul_f32_e32 v137, v137, v57                              // 000000004EF4: 0B127389
	v_mul_f32_e32 v138, v138, v58                              // 000000004EF8: 0B14758A
	v_mul_f32_e32 v139, v139, v59                              // 000000004EFC: 0B16778B
	v_mul_f32_e32 v136, v136, v72                              // 000000004F00: 0B109188
	v_mul_f32_e32 v137, v137, v73                              // 000000004F04: 0B129389
	v_mul_f32_e32 v138, v138, v74                              // 000000004F08: 0B14958A
	v_mul_f32_e32 v139, v139, v75                              // 000000004F0C: 0B16978B
	buffer_load_dwordx4 a[24:27], v50, s[12:15], 0 offen       // 000000004F10: E05C1000 80831832
	v_mul_f32_e32 v56, v140, v140                              // 000000004F18: 0A71198C
	v_mul_f32_e32 v57, v141, v141                              // 000000004F1C: 0A731B8D
	v_mul_f32_e32 v58, v142, v142                              // 000000004F20: 0A751D8E
	v_mul_f32_e32 v59, v143, v143                              // 000000004F24: 0A771F8F
	v_fma_f32 v56, v56, s77, v1                                // 000000004F28: D1CB0038 04049B38
	v_fma_f32 v57, v57, s77, v1                                // 000000004F30: D1CB0039 04049B39
	v_fma_f32 v58, v58, s77, v1                                // 000000004F38: D1CB003A 04049B3A
	v_fma_f32 v59, v59, s77, v1                                // 000000004F40: D1CB003B 04049B3B
	v_mul_f32_e32 v56, v56, v140                               // 000000004F48: 0A711938
	v_mul_f32_e32 v57, v57, v141                               // 000000004F4C: 0A731B39
	v_mul_f32_e32 v58, v58, v142                               // 000000004F50: 0A751D3A
	v_mul_f32_e32 v59, v59, v143                               // 000000004F54: 0A771F3B
	v_mul_f32_e64 v56, v56, s6                                 // 000000004F58: D1050038 00000D38
	v_mul_f32_e64 v57, v57, s6                                 // 000000004F60: D1050039 00000D39
	v_mul_f32_e64 v58, v58, s6                                 // 000000004F68: D105003A 00000D3A
	v_mul_f32_e64 v59, v59, s6                                 // 000000004F70: D105003B 00000D3B
	v_exp_f32_e32 v56, v56                                     // 000000004F78: 7E704138
	v_exp_f32_e32 v57, v57                                     // 000000004F7C: 7E724139
	v_exp_f32_e32 v58, v58                                     // 000000004F80: 7E74413A
	v_exp_f32_e32 v59, v59                                     // 000000004F84: 7E76413B
	buffer_load_dwordx4 a[28:31], v51, s[12:15], 0 offen       // 000000004F88: E05C1000 80831C33
	s_add_u32 s12, s78, s12                                    // 000000004F90: 800C0C4E
	s_addc_u32 s13, 0, s13                                     // 000000004F94: 820D0D80
	v_add_f32_e64 v56, v56, 1.0                                // 000000004F98: D1010038 0001E538
	v_add_f32_e64 v57, v57, 1.0                                // 000000004FA0: D1010039 0001E539
	v_add_f32_e64 v58, v58, 1.0                                // 000000004FA8: D101003A 0001E53A
	v_add_f32_e64 v59, v59, 1.0                                // 000000004FB0: D101003B 0001E53B
	v_rcp_f32_e32 v56, v56                                     // 000000004FB8: 7E704538
	v_rcp_f32_e32 v57, v57                                     // 000000004FBC: 7E724539
	v_rcp_f32_e32 v58, v58                                     // 000000004FC0: 7E74453A
	v_rcp_f32_e32 v59, v59                                     // 000000004FC4: 7E76453B
	v_mul_f32_e32 v140, v140, v56                              // 000000004FC8: 0B18718C
	v_mul_f32_e32 v141, v141, v57                              // 000000004FCC: 0B1A738D
	v_mul_f32_e32 v142, v142, v58                              // 000000004FD0: 0B1C758E
	v_mul_f32_e32 v143, v143, v59                              // 000000004FD4: 0B1E778F
	v_mul_f32_e32 v140, v140, v76                              // 000000004FD8: 0B18998C
	v_mul_f32_e32 v141, v141, v77                              // 000000004FDC: 0B1A9B8D
	v_mul_f32_e32 v142, v142, v78                              // 000000004FE0: 0B1C9D8E
	v_mul_f32_e32 v143, v143, v79                              // 000000004FE4: 0B1E9F8F
	s_waitcnt vmcnt(12)                                        // 000000004FE8: BF8C0F7C
	buffer_load_dwordx4 a[32:35], v48, s[12:15], 0 offen       // 000000004FEC: E05C1000 80832030
	v_mul_f32_e32 v56, v144, v144                              // 000000004FF4: 0A712190
	v_mul_f32_e32 v57, v145, v145                              // 000000004FF8: 0A732391
	v_mul_f32_e32 v58, v146, v146                              // 000000004FFC: 0A752592
	v_mul_f32_e32 v59, v147, v147                              // 000000005000: 0A772793
	v_fma_f32 v56, v56, s77, v1                                // 000000005004: D1CB0038 04049B38
	v_fma_f32 v57, v57, s77, v1                                // 00000000500C: D1CB0039 04049B39
	v_fma_f32 v58, v58, s77, v1                                // 000000005014: D1CB003A 04049B3A
	v_fma_f32 v59, v59, s77, v1                                // 00000000501C: D1CB003B 04049B3B
	v_mul_f32_e32 v56, v56, v144                               // 000000005024: 0A712138
	v_mul_f32_e32 v57, v57, v145                               // 000000005028: 0A732339
	v_mul_f32_e32 v58, v58, v146                               // 00000000502C: 0A75253A
	v_mul_f32_e32 v59, v59, v147                               // 000000005030: 0A77273B
	v_mul_f32_e64 v56, v56, s6                                 // 000000005034: D1050038 00000D38
	v_mul_f32_e64 v57, v57, s6                                 // 00000000503C: D1050039 00000D39
	v_mul_f32_e64 v58, v58, s6                                 // 000000005044: D105003A 00000D3A
	v_mul_f32_e64 v59, v59, s6                                 // 00000000504C: D105003B 00000D3B
	v_exp_f32_e32 v56, v56                                     // 000000005054: 7E704138
	v_exp_f32_e32 v57, v57                                     // 000000005058: 7E724139
	v_exp_f32_e32 v58, v58                                     // 00000000505C: 7E74413A
	v_exp_f32_e32 v59, v59                                     // 000000005060: 7E76413B
	buffer_load_dwordx4 a[36:39], v49, s[12:15], 0 offen       // 000000005064: E05C1000 80832431
	v_add_f32_e64 v56, v56, 1.0                                // 00000000506C: D1010038 0001E538
	v_add_f32_e64 v57, v57, 1.0                                // 000000005074: D1010039 0001E539
	v_add_f32_e64 v58, v58, 1.0                                // 00000000507C: D101003A 0001E53A
	v_add_f32_e64 v59, v59, 1.0                                // 000000005084: D101003B 0001E53B
	v_rcp_f32_e32 v56, v56                                     // 00000000508C: 7E704538
	v_rcp_f32_e32 v57, v57                                     // 000000005090: 7E724539
	v_rcp_f32_e32 v58, v58                                     // 000000005094: 7E74453A
	v_rcp_f32_e32 v59, v59                                     // 000000005098: 7E76453B
	v_mul_f32_e32 v144, v144, v56                              // 00000000509C: 0B207190
	v_mul_f32_e32 v145, v145, v57                              // 0000000050A0: 0B227391
	v_mul_f32_e32 v146, v146, v58                              // 0000000050A4: 0B247592
	v_mul_f32_e32 v147, v147, v59                              // 0000000050A8: 0B267793
	v_mul_f32_e32 v144, v144, v80                              // 0000000050AC: 0B20A190
	v_mul_f32_e32 v145, v145, v81                              // 0000000050B0: 0B22A391
	v_mul_f32_e32 v146, v146, v82                              // 0000000050B4: 0B24A592
	v_mul_f32_e32 v147, v147, v83                              // 0000000050B8: 0B26A793
	buffer_load_dwordx4 a[40:43], v50, s[12:15], 0 offen       // 0000000050BC: E05C1000 80832832
	v_mul_f32_e32 v56, v148, v148                              // 0000000050C4: 0A712994
	v_mul_f32_e32 v57, v149, v149                              // 0000000050C8: 0A732B95
	v_mul_f32_e32 v58, v150, v150                              // 0000000050CC: 0A752D96
	v_mul_f32_e32 v59, v151, v151                              // 0000000050D0: 0A772F97
	v_fma_f32 v56, v56, s77, v1                                // 0000000050D4: D1CB0038 04049B38
	v_fma_f32 v57, v57, s77, v1                                // 0000000050DC: D1CB0039 04049B39
	v_fma_f32 v58, v58, s77, v1                                // 0000000050E4: D1CB003A 04049B3A
	v_fma_f32 v59, v59, s77, v1                                // 0000000050EC: D1CB003B 04049B3B
	v_mul_f32_e32 v56, v56, v148                               // 0000000050F4: 0A712938
	v_mul_f32_e32 v57, v57, v149                               // 0000000050F8: 0A732B39
	v_mul_f32_e32 v58, v58, v150                               // 0000000050FC: 0A752D3A
	v_mul_f32_e32 v59, v59, v151                               // 000000005100: 0A772F3B
	v_mul_f32_e64 v56, v56, s6                                 // 000000005104: D1050038 00000D38
	v_mul_f32_e64 v57, v57, s6                                 // 00000000510C: D1050039 00000D39
	v_mul_f32_e64 v58, v58, s6                                 // 000000005114: D105003A 00000D3A
	v_mul_f32_e64 v59, v59, s6                                 // 00000000511C: D105003B 00000D3B
	v_exp_f32_e32 v56, v56                                     // 000000005124: 7E704138
	v_exp_f32_e32 v57, v57                                     // 000000005128: 7E724139
	v_exp_f32_e32 v58, v58                                     // 00000000512C: 7E74413A
	v_exp_f32_e32 v59, v59                                     // 000000005130: 7E76413B
	buffer_load_dwordx4 a[44:47], v51, s[12:15], 0 offen       // 000000005134: E05C1000 80832C33
	s_add_u32 s12, s78, s12                                    // 00000000513C: 800C0C4E
	s_addc_u32 s13, 0, s13                                     // 000000005140: 820D0D80
	v_add_f32_e64 v56, v56, 1.0                                // 000000005144: D1010038 0001E538
	v_add_f32_e64 v57, v57, 1.0                                // 00000000514C: D1010039 0001E539
	v_add_f32_e64 v58, v58, 1.0                                // 000000005154: D101003A 0001E53A
	v_add_f32_e64 v59, v59, 1.0                                // 00000000515C: D101003B 0001E53B
	v_rcp_f32_e32 v56, v56                                     // 000000005164: 7E704538
	v_rcp_f32_e32 v57, v57                                     // 000000005168: 7E724539
	v_rcp_f32_e32 v58, v58                                     // 00000000516C: 7E74453A
	v_rcp_f32_e32 v59, v59                                     // 000000005170: 7E76453B
	v_mul_f32_e32 v148, v148, v56                              // 000000005174: 0B287194
	v_mul_f32_e32 v149, v149, v57                              // 000000005178: 0B2A7395
	v_mul_f32_e32 v150, v150, v58                              // 00000000517C: 0B2C7596
	v_mul_f32_e32 v151, v151, v59                              // 000000005180: 0B2E7797
	v_mul_f32_e32 v148, v148, v84                              // 000000005184: 0B28A994
	v_mul_f32_e32 v149, v149, v85                              // 000000005188: 0B2AAB95
	v_mul_f32_e32 v150, v150, v86                              // 00000000518C: 0B2CAD96
	v_mul_f32_e32 v151, v151, v87                              // 000000005190: 0B2EAF97
	s_waitcnt vmcnt(12)                                        // 000000005194: BF8C0F7C
	buffer_load_dwordx4 a[48:51], v48, s[12:15], 0 offen       // 000000005198: E05C1000 80833030
	v_mul_f32_e32 v56, v152, v152                              // 0000000051A0: 0A713198
	v_mul_f32_e32 v57, v153, v153                              // 0000000051A4: 0A733399
	v_mul_f32_e32 v58, v154, v154                              // 0000000051A8: 0A75359A
	v_mul_f32_e32 v59, v155, v155                              // 0000000051AC: 0A77379B
	v_fma_f32 v56, v56, s77, v1                                // 0000000051B0: D1CB0038 04049B38
	v_fma_f32 v57, v57, s77, v1                                // 0000000051B8: D1CB0039 04049B39
	v_fma_f32 v58, v58, s77, v1                                // 0000000051C0: D1CB003A 04049B3A
	v_fma_f32 v59, v59, s77, v1                                // 0000000051C8: D1CB003B 04049B3B
	v_mul_f32_e32 v56, v56, v152                               // 0000000051D0: 0A713138
	v_mul_f32_e32 v57, v57, v153                               // 0000000051D4: 0A733339
	v_mul_f32_e32 v58, v58, v154                               // 0000000051D8: 0A75353A
	v_mul_f32_e32 v59, v59, v155                               // 0000000051DC: 0A77373B
	v_mul_f32_e64 v56, v56, s6                                 // 0000000051E0: D1050038 00000D38
	v_mul_f32_e64 v57, v57, s6                                 // 0000000051E8: D1050039 00000D39
	v_mul_f32_e64 v58, v58, s6                                 // 0000000051F0: D105003A 00000D3A
	v_mul_f32_e64 v59, v59, s6                                 // 0000000051F8: D105003B 00000D3B
	v_exp_f32_e32 v56, v56                                     // 000000005200: 7E704138
	v_exp_f32_e32 v57, v57                                     // 000000005204: 7E724139
	v_exp_f32_e32 v58, v58                                     // 000000005208: 7E74413A
	v_exp_f32_e32 v59, v59                                     // 00000000520C: 7E76413B
	buffer_load_dwordx4 a[52:55], v49, s[12:15], 0 offen       // 000000005210: E05C1000 80833431
	v_add_f32_e64 v56, v56, 1.0                                // 000000005218: D1010038 0001E538
	v_add_f32_e64 v57, v57, 1.0                                // 000000005220: D1010039 0001E539
	v_add_f32_e64 v58, v58, 1.0                                // 000000005228: D101003A 0001E53A
	v_add_f32_e64 v59, v59, 1.0                                // 000000005230: D101003B 0001E53B
	v_rcp_f32_e32 v56, v56                                     // 000000005238: 7E704538
	v_rcp_f32_e32 v57, v57                                     // 00000000523C: 7E724539
	v_rcp_f32_e32 v58, v58                                     // 000000005240: 7E74453A
	v_rcp_f32_e32 v59, v59                                     // 000000005244: 7E76453B
	v_mul_f32_e32 v152, v152, v56                              // 000000005248: 0B307198
	v_mul_f32_e32 v153, v153, v57                              // 00000000524C: 0B327399
	v_mul_f32_e32 v154, v154, v58                              // 000000005250: 0B34759A
	v_mul_f32_e32 v155, v155, v59                              // 000000005254: 0B36779B
	v_mul_f32_e32 v152, v152, v88                              // 000000005258: 0B30B198
	v_mul_f32_e32 v153, v153, v89                              // 00000000525C: 0B32B399
	v_mul_f32_e32 v154, v154, v90                              // 000000005260: 0B34B59A
	v_mul_f32_e32 v155, v155, v91                              // 000000005264: 0B36B79B
	buffer_load_dwordx4 a[56:59], v50, s[12:15], 0 offen       // 000000005268: E05C1000 80833832
	v_mul_f32_e32 v56, v156, v156                              // 000000005270: 0A71399C
	v_mul_f32_e32 v57, v157, v157                              // 000000005274: 0A733B9D
	v_mul_f32_e32 v58, v158, v158                              // 000000005278: 0A753D9E
	v_mul_f32_e32 v59, v159, v159                              // 00000000527C: 0A773F9F
	v_fma_f32 v56, v56, s77, v1                                // 000000005280: D1CB0038 04049B38
	v_fma_f32 v57, v57, s77, v1                                // 000000005288: D1CB0039 04049B39
	v_fma_f32 v58, v58, s77, v1                                // 000000005290: D1CB003A 04049B3A
	v_fma_f32 v59, v59, s77, v1                                // 000000005298: D1CB003B 04049B3B
	v_mul_f32_e32 v56, v56, v156                               // 0000000052A0: 0A713938
	v_mul_f32_e32 v57, v57, v157                               // 0000000052A4: 0A733B39
	v_mul_f32_e32 v58, v58, v158                               // 0000000052A8: 0A753D3A
	v_mul_f32_e32 v59, v59, v159                               // 0000000052AC: 0A773F3B
	v_mul_f32_e64 v56, v56, s6                                 // 0000000052B0: D1050038 00000D38
	v_mul_f32_e64 v57, v57, s6                                 // 0000000052B8: D1050039 00000D39
	v_mul_f32_e64 v58, v58, s6                                 // 0000000052C0: D105003A 00000D3A
	v_mul_f32_e64 v59, v59, s6                                 // 0000000052C8: D105003B 00000D3B
	v_exp_f32_e32 v56, v56                                     // 0000000052D0: 7E704138
	v_exp_f32_e32 v57, v57                                     // 0000000052D4: 7E724139
	v_exp_f32_e32 v58, v58                                     // 0000000052D8: 7E74413A
	v_exp_f32_e32 v59, v59                                     // 0000000052DC: 7E76413B
	buffer_load_dwordx4 a[60:63], v51, s[12:15], 0 offen       // 0000000052E0: E05C1000 80833C33
	v_add_f32_e64 v56, v56, 1.0                                // 0000000052E8: D1010038 0001E538
	v_add_f32_e64 v57, v57, 1.0                                // 0000000052F0: D1010039 0001E539
	v_add_f32_e64 v58, v58, 1.0                                // 0000000052F8: D101003A 0001E53A
	v_add_f32_e64 v59, v59, 1.0                                // 000000005300: D101003B 0001E53B
	v_rcp_f32_e32 v56, v56                                     // 000000005308: 7E704538
	v_rcp_f32_e32 v57, v57                                     // 00000000530C: 7E724539
	v_rcp_f32_e32 v58, v58                                     // 000000005310: 7E74453A
	v_rcp_f32_e32 v59, v59                                     // 000000005314: 7E76453B
	v_mul_f32_e32 v156, v156, v56                              // 000000005318: 0B38719C
	v_mul_f32_e32 v157, v157, v57                              // 00000000531C: 0B3A739D
	v_mul_f32_e32 v158, v158, v58                              // 000000005320: 0B3C759E
	v_mul_f32_e32 v159, v159, v59                              // 000000005324: 0B3E779F
	v_mul_f32_e32 v156, v156, v92                              // 000000005328: 0B38B99C
	v_mul_f32_e32 v157, v157, v93                              // 00000000532C: 0B3ABB9D
	v_mul_f32_e32 v158, v158, v94                              // 000000005330: 0B3CBD9E
	v_mul_f32_e32 v159, v159, v95                              // 000000005334: 0B3EBF9F
	v_lshlrev_b32_e32 v56, 2, v0                               // 000000005338: 24700082
	s_mul_i32 s60, s82, s71                                    // 00000000533C: 923C4752
	v_add_u32_e64 v80, v56, s60                                // 000000005340: D1340050 00007938
	v_mov_b32_e32 v81, 0                                       // 000000005348: 7EA20280
	s_mul_i32 s60, s83, s71                                    // 00000000534C: 923C4753
	v_add_u32_e64 v82, v56, s60                                // 000000005350: D1340052 00007938
	v_mov_b32_e32 v83, 0                                       // 000000005358: 7EA60280
	s_mul_i32 s60, s84, s71                                    // 00000000535C: 923C4754
	v_add_u32_e64 v84, v56, s60                                // 000000005360: D1340054 00007938
	v_mov_b32_e32 v85, 0                                       // 000000005368: 7EAA0280
	s_mul_i32 s60, s85, s71                                    // 00000000536C: 923C4755
	v_add_u32_e64 v86, v56, s60                                // 000000005370: D1340056 00007938
	v_mov_b32_e32 v87, 0                                       // 000000005378: 7EAE0280
	s_mul_i32 s60, s86, s71                                    // 00000000537C: 923C4756
	v_add_u32_e64 v88, v56, s60                                // 000000005380: D1340058 00007938
	v_mov_b32_e32 v89, 0                                       // 000000005388: 7EB20280
	s_mul_i32 s60, s87, s71                                    // 00000000538C: 923C4757
	v_add_u32_e64 v90, v56, s60                                // 000000005390: D134005A 00007938
	v_mov_b32_e32 v91, 0                                       // 000000005398: 7EB60280
	s_mul_i32 s60, s88, s71                                    // 00000000539C: 923C4758
	v_add_u32_e64 v92, v56, s60                                // 0000000053A0: D134005C 00007938
	v_mov_b32_e32 v93, 0                                       // 0000000053A8: 7EBA0280
	s_mul_i32 s60, s89, s71                                    // 0000000053AC: 923C4759
	v_add_u32_e64 v94, v56, s60                                // 0000000053B0: D134005E 00007938
	v_mov_b32_e32 v95, 0                                       // 0000000053B8: 7EBE0280
	buffer_load_dword v23, v6, s[16:19], 0 offen               // 0000000053BC: E0501000 80041706
	v_mov_b32_e32 v28, 0x358637bd                              // 0000000053C4: 7E3802FF 358637BD
	v_mov_b32_e32 v29, 0x358637bd                              // 0000000053CC: 7E3A02FF 358637BD
	v_max3_f32 v28, |v128|, |v129|, v28                        // 0000000053D4: D1D3031C 04730380
	v_max3_f32 v28, |v130|, |v131|, v28                        // 0000000053DC: D1D3031C 04730782
	v_max3_f32 v29, |v132|, |v133|, v29                        // 0000000053E4: D1D3031D 04770B84
	v_max3_f32 v29, |v134|, |v135|, v29                        // 0000000053EC: D1D3031D 04770F86
	v_max3_f32 v28, |v136|, |v137|, v28                        // 0000000053F4: D1D3031C 04731388
	v_max3_f32 v28, |v138|, |v139|, v28                        // 0000000053FC: D1D3031C 0473178A
	v_max3_f32 v29, |v140|, |v141|, v29                        // 000000005404: D1D3031D 04771B8C
	v_max3_f32 v29, |v142|, |v143|, v29                        // 00000000540C: D1D3031D 04771F8E
	v_lshlrev_b32_e32 v56, 3, v0                               // 000000005414: 24700083
	s_mul_i32 s60, 0x200, s7                                   // 000000005418: 923C07FF 00000200
	v_add_u32_e32 v56, s60, v56                                // 000000005420: 6870703C
	ds_write_b64 v56, v[28:29] offset:18688                    // 000000005424: D89A4900 00001C38
	s_waitcnt lgkmcnt(0)                                       // 00000000542C: BF8CC07F
	s_barrier                                                  // 000000005430: BF8A0000
	v_and_b32_e32 v56, 15, v0                                  // 000000005434: 2670008F
	v_lshlrev_b32_e32 v56, 3, v56                              // 000000005438: 24707083
	ds_read_b64 v[96:97], v56 offset:18688                     // 00000000543C: D8EC4900 60000038
	ds_read_b64 v[98:99], v56 offset:18816                     // 000000005444: D8EC4980 62000038
	ds_read_b64 v[100:101], v56 offset:18944                   // 00000000544C: D8EC4A00 64000038
	ds_read_b64 v[102:103], v56 offset:19072                   // 000000005454: D8EC4A80 66000038
	ds_read_b64 v[104:105], v56 offset:19200                   // 00000000545C: D8EC4B00 68000038
	ds_read_b64 v[106:107], v56 offset:19328                   // 000000005464: D8EC4B80 6A000038
	ds_read_b64 v[108:109], v56 offset:19456                   // 00000000546C: D8EC4C00 6C000038
	ds_read_b64 v[110:111], v56 offset:19584                   // 000000005474: D8EC4C80 6E000038
	ds_read_b64 v[112:113], v56 offset:19712                   // 00000000547C: D8EC4D00 70000038
	ds_read_b64 v[114:115], v56 offset:19840                   // 000000005484: D8EC4D80 72000038
	ds_read_b64 v[116:117], v56 offset:19968                   // 00000000548C: D8EC4E00 74000038
	ds_read_b64 v[118:119], v56 offset:20096                   // 000000005494: D8EC4E80 76000038
	ds_read_b64 v[120:121], v56 offset:20224                   // 00000000549C: D8EC4F00 78000038
	ds_read_b64 v[122:123], v56 offset:20352                   // 0000000054A4: D8EC4F80 7A000038
	ds_read_b64 v[124:125], v56 offset:20480                   // 0000000054AC: D8EC5000 7C000038
	ds_read_b64 v[126:127], v56 offset:20608                   // 0000000054B4: D8EC5080 7E000038
	s_waitcnt lgkmcnt(0)                                       // 0000000054BC: BF8CC07F
	v_max3_f32 v28, |v96|, |v98|, v28                          // 0000000054C0: D1D3031C 0472C560
	v_max3_f32 v29, |v97|, |v99|, v29                          // 0000000054C8: D1D3031D 0476C761
	v_max3_f32 v28, |v100|, |v102|, v28                        // 0000000054D0: D1D3031C 0472CD64
	v_max3_f32 v29, |v101|, |v103|, v29                        // 0000000054D8: D1D3031D 0476CF65
	v_max3_f32 v28, |v104|, |v106|, v28                        // 0000000054E0: D1D3031C 0472D568
	v_max3_f32 v29, |v105|, |v107|, v29                        // 0000000054E8: D1D3031D 0476D769
	v_max3_f32 v28, |v108|, |v110|, v28                        // 0000000054F0: D1D3031C 0472DD6C
	v_max3_f32 v29, |v109|, |v111|, v29                        // 0000000054F8: D1D3031D 0476DF6D
	v_max3_f32 v28, |v112|, |v114|, v28                        // 000000005500: D1D3031C 0472E570
	v_max3_f32 v29, |v113|, |v115|, v29                        // 000000005508: D1D3031D 0476E771
	v_max3_f32 v28, |v116|, |v118|, v28                        // 000000005510: D1D3031C 0472ED74
	v_max3_f32 v29, |v117|, |v119|, v29                        // 000000005518: D1D3031D 0476EF75
	v_max3_f32 v28, |v120|, |v122|, v28                        // 000000005520: D1D3031C 0472F578
	v_max3_f32 v29, |v121|, |v123|, v29                        // 000000005528: D1D3031D 0476F779
	v_max3_f32 v28, |v124|, |v126|, v28                        // 000000005530: D1D3031C 0472FD7C
	v_max3_f32 v29, |v125|, |v127|, v29                        // 000000005538: D1D3031D 0476FF7D
	v_rcp_f32_e32 v28, v28                                     // 000000005540: 7E38451C
	v_rcp_f32_e32 v29, v29                                     // 000000005544: 7E3A451D
	v_mov_b32_e32 v56, 0x43700000                              // 000000005548: 7E7002FF 43700000
	v_mul_f32_e32 v28, v56, v28                                // 000000005550: 0A383938
	v_mul_f32_e32 v29, v56, v29                                // 000000005554: 0A3A3B38
	v_mul_f32_e32 v128, v28, v128                              // 000000005558: 0B01011C
	v_mul_f32_e32 v129, v28, v129                              // 00000000555C: 0B03031C
	v_mul_f32_e32 v130, v28, v130                              // 000000005560: 0B05051C
	v_mul_f32_e32 v131, v28, v131                              // 000000005564: 0B07071C
	v_cvt_pk_fp8_f32 v128, v128, v129                          // 000000005568: D2A20080 00030380
	v_cvt_pk_fp8_f32 v128, v130, v131 op_sel:[0,0,1]           // 000000005570: D2A24080 00030782
	v_mul_f32_e32 v132, v29, v132                              // 000000005578: 0B09091D
	v_mul_f32_e32 v133, v29, v133                              // 00000000557C: 0B0B0B1D
	v_mul_f32_e32 v134, v29, v134                              // 000000005580: 0B0D0D1D
	v_mul_f32_e32 v135, v29, v135                              // 000000005584: 0B0F0F1D
	v_cvt_pk_fp8_f32 v129, v132, v133                          // 000000005588: D2A20081 00030B84
	v_cvt_pk_fp8_f32 v129, v134, v135 op_sel:[0,0,1]           // 000000005590: D2A24081 00030F86
	v_mul_f32_e32 v136, v28, v136                              // 000000005598: 0B11111C
	v_mul_f32_e32 v137, v28, v137                              // 00000000559C: 0B13131C
	v_mul_f32_e32 v138, v28, v138                              // 0000000055A0: 0B15151C
	v_mul_f32_e32 v139, v28, v139                              // 0000000055A4: 0B17171C
	v_cvt_pk_fp8_f32 v130, v136, v137                          // 0000000055A8: D2A20082 00031388
	v_cvt_pk_fp8_f32 v130, v138, v139 op_sel:[0,0,1]           // 0000000055B0: D2A24082 0003178A
	v_mul_f32_e32 v140, v29, v140                              // 0000000055B8: 0B19191D
	v_mul_f32_e32 v141, v29, v141                              // 0000000055BC: 0B1B1B1D
	v_mul_f32_e32 v142, v29, v142                              // 0000000055C0: 0B1D1D1D
	v_mul_f32_e32 v143, v29, v143                              // 0000000055C4: 0B1F1F1D
	v_cvt_pk_fp8_f32 v131, v140, v141                          // 0000000055C8: D2A20083 00031B8C
	v_cvt_pk_fp8_f32 v131, v142, v143 op_sel:[0,0,1]           // 0000000055D0: D2A24083 00031F8E
	v_rcp_f32_e32 v32, v28                                     // 0000000055D8: 7E40451C
	v_rcp_f32_e32 v33, v29                                     // 0000000055DC: 7E42451D
	v_mov_b32_e32 v30, 0x358637bd                              // 0000000055E0: 7E3C02FF 358637BD
	v_mov_b32_e32 v31, 0x358637bd                              // 0000000055E8: 7E3E02FF 358637BD
	v_max3_f32 v30, |v144|, |v145|, v30                        // 0000000055F0: D1D3031E 047B2390
	v_max3_f32 v30, |v146|, |v147|, v30                        // 0000000055F8: D1D3031E 047B2792
	v_max3_f32 v31, |v148|, |v149|, v31                        // 000000005600: D1D3031F 047F2B94
	v_max3_f32 v31, |v150|, |v151|, v31                        // 000000005608: D1D3031F 047F2F96
	v_max3_f32 v30, |v152|, |v153|, v30                        // 000000005610: D1D3031E 047B3398
	v_max3_f32 v30, |v154|, |v155|, v30                        // 000000005618: D1D3031E 047B379A
	v_max3_f32 v31, |v156|, |v157|, v31                        // 000000005620: D1D3031F 047F3B9C
	v_max3_f32 v31, |v158|, |v159|, v31                        // 000000005628: D1D3031F 047F3F9E
	v_lshlrev_b32_e32 v56, 3, v0                               // 000000005630: 24700083
	s_mul_i32 s60, 0x200, s7                                   // 000000005634: 923C07FF 00000200
	v_add_u32_e32 v56, s60, v56                                // 00000000563C: 6870703C
	ds_write_b64 v56, v[30:31] offset:18688                    // 000000005640: D89A4900 00001E38
	s_waitcnt lgkmcnt(0)                                       // 000000005648: BF8CC07F
	s_barrier                                                  // 00000000564C: BF8A0000
	v_and_b32_e32 v56, 15, v0                                  // 000000005650: 2670008F
	v_lshlrev_b32_e32 v56, 3, v56                              // 000000005654: 24707083
	ds_read_b64 v[96:97], v56 offset:18688                     // 000000005658: D8EC4900 60000038
	ds_read_b64 v[98:99], v56 offset:18816                     // 000000005660: D8EC4980 62000038
	ds_read_b64 v[100:101], v56 offset:18944                   // 000000005668: D8EC4A00 64000038
	ds_read_b64 v[102:103], v56 offset:19072                   // 000000005670: D8EC4A80 66000038
	ds_read_b64 v[104:105], v56 offset:19200                   // 000000005678: D8EC4B00 68000038
	ds_read_b64 v[106:107], v56 offset:19328                   // 000000005680: D8EC4B80 6A000038
	ds_read_b64 v[108:109], v56 offset:19456                   // 000000005688: D8EC4C00 6C000038
	ds_read_b64 v[110:111], v56 offset:19584                   // 000000005690: D8EC4C80 6E000038
	ds_read_b64 v[112:113], v56 offset:19712                   // 000000005698: D8EC4D00 70000038
	ds_read_b64 v[114:115], v56 offset:19840                   // 0000000056A0: D8EC4D80 72000038
	ds_read_b64 v[116:117], v56 offset:19968                   // 0000000056A8: D8EC4E00 74000038
	ds_read_b64 v[118:119], v56 offset:20096                   // 0000000056B0: D8EC4E80 76000038
	ds_read_b64 v[120:121], v56 offset:20224                   // 0000000056B8: D8EC4F00 78000038
	ds_read_b64 v[122:123], v56 offset:20352                   // 0000000056C0: D8EC4F80 7A000038
	ds_read_b64 v[124:125], v56 offset:20480                   // 0000000056C8: D8EC5000 7C000038
	ds_read_b64 v[126:127], v56 offset:20608                   // 0000000056D0: D8EC5080 7E000038
	s_waitcnt lgkmcnt(0)                                       // 0000000056D8: BF8CC07F
	v_max3_f32 v30, |v96|, |v98|, v30                          // 0000000056DC: D1D3031E 047AC560
	v_max3_f32 v31, |v97|, |v99|, v31                          // 0000000056E4: D1D3031F 047EC761
	v_max3_f32 v30, |v100|, |v102|, v30                        // 0000000056EC: D1D3031E 047ACD64
	v_max3_f32 v31, |v101|, |v103|, v31                        // 0000000056F4: D1D3031F 047ECF65
	v_max3_f32 v30, |v104|, |v106|, v30                        // 0000000056FC: D1D3031E 047AD568
	v_max3_f32 v31, |v105|, |v107|, v31                        // 000000005704: D1D3031F 047ED769
	v_max3_f32 v30, |v108|, |v110|, v30                        // 00000000570C: D1D3031E 047ADD6C
	v_max3_f32 v31, |v109|, |v111|, v31                        // 000000005714: D1D3031F 047EDF6D
	v_max3_f32 v30, |v112|, |v114|, v30                        // 00000000571C: D1D3031E 047AE570
	v_max3_f32 v31, |v113|, |v115|, v31                        // 000000005724: D1D3031F 047EE771
	v_max3_f32 v30, |v116|, |v118|, v30                        // 00000000572C: D1D3031E 047AED74
	v_max3_f32 v31, |v117|, |v119|, v31                        // 000000005734: D1D3031F 047EEF75
	v_max3_f32 v30, |v120|, |v122|, v30                        // 00000000573C: D1D3031E 047AF578
	v_max3_f32 v31, |v121|, |v123|, v31                        // 000000005744: D1D3031F 047EF779
	v_max3_f32 v30, |v124|, |v126|, v30                        // 00000000574C: D1D3031E 047AFD7C
	v_max3_f32 v31, |v125|, |v127|, v31                        // 000000005754: D1D3031F 047EFF7D
	v_rcp_f32_e32 v30, v30                                     // 00000000575C: 7E3C451E
	v_rcp_f32_e32 v31, v31                                     // 000000005760: 7E3E451F
	v_mov_b32_e32 v56, 0x43700000                              // 000000005764: 7E7002FF 43700000
	v_mul_f32_e32 v30, v56, v30                                // 00000000576C: 0A3C3D38
	v_mul_f32_e32 v31, v56, v31                                // 000000005770: 0A3E3F38
	v_mul_f32_e32 v144, v30, v144                              // 000000005774: 0B21211E
	v_mul_f32_e32 v145, v30, v145                              // 000000005778: 0B23231E
	v_mul_f32_e32 v146, v30, v146                              // 00000000577C: 0B25251E
	v_mul_f32_e32 v147, v30, v147                              // 000000005780: 0B27271E
	v_cvt_pk_fp8_f32 v132, v144, v145                          // 000000005784: D2A20084 00032390
	v_cvt_pk_fp8_f32 v132, v146, v147 op_sel:[0,0,1]           // 00000000578C: D2A24084 00032792
	v_mul_f32_e32 v148, v31, v148                              // 000000005794: 0B29291F
	v_mul_f32_e32 v149, v31, v149                              // 000000005798: 0B2B2B1F
	v_mul_f32_e32 v150, v31, v150                              // 00000000579C: 0B2D2D1F
	v_mul_f32_e32 v151, v31, v151                              // 0000000057A0: 0B2F2F1F
	v_cvt_pk_fp8_f32 v133, v148, v149                          // 0000000057A4: D2A20085 00032B94
	v_cvt_pk_fp8_f32 v133, v150, v151 op_sel:[0,0,1]           // 0000000057AC: D2A24085 00032F96
	v_mul_f32_e32 v152, v30, v152                              // 0000000057B4: 0B31311E
	v_mul_f32_e32 v153, v30, v153                              // 0000000057B8: 0B33331E
	v_mul_f32_e32 v154, v30, v154                              // 0000000057BC: 0B35351E
	v_mul_f32_e32 v155, v30, v155                              // 0000000057C0: 0B37371E
	v_cvt_pk_fp8_f32 v134, v152, v153                          // 0000000057C4: D2A20086 00033398
	v_cvt_pk_fp8_f32 v134, v154, v155 op_sel:[0,0,1]           // 0000000057CC: D2A24086 0003379A
	v_mul_f32_e32 v156, v31, v156                              // 0000000057D4: 0B39391F
	v_mul_f32_e32 v157, v31, v157                              // 0000000057D8: 0B3B3B1F
	v_mul_f32_e32 v158, v31, v158                              // 0000000057DC: 0B3D3D1F
	v_mul_f32_e32 v159, v31, v159                              // 0000000057E0: 0B3F3F1F
	v_cvt_pk_fp8_f32 v135, v156, v157                          // 0000000057E4: D2A20087 00033B9C
	v_cvt_pk_fp8_f32 v135, v158, v159 op_sel:[0,0,1]           // 0000000057EC: D2A24087 00033F9E
	v_rcp_f32_e32 v34, v30                                     // 0000000057F4: 7E44451E
	v_rcp_f32_e32 v35, v31                                     // 0000000057F8: 7E46451F
	v_lshrrev_b32_e32 v56, 5, v0                               // 0000000057FC: 20700085
	v_lshlrev_b32_e32 v57, 5, v56                              // 000000005800: 24727085
	v_and_b32_e32 v56, 31, v0                                  // 000000005804: 2670009F
	v_lshrrev_b32_e32 v58, 4, v56                              // 000000005808: 20747084
	v_add_u32_e32 v57, v58, v57                                // 00000000580C: 6872733A
	v_and_b32_e32 v56, 15, v0                                  // 000000005810: 2670008F
	v_lshlrev_b32_e32 v56, 1, v56                              // 000000005814: 24707081
	v_add_u32_e32 v57, v56, v57                                // 000000005818: 68727338
	v_lshlrev_b32_e32 v56, 2, v57                              // 00000000581C: 24707282
	s_mul_i32 s60, 0x100, s7                                   // 000000005820: 923C07FF 00000100
	v_add_u32_e64 v56, v56, s60                                // 000000005828: D1340038 00007938
	ds_write_b32 v56, v128 offset:20736                        // 000000005830: D81A5100 00008038
	ds_write_b32 v56, v129 offset:24832                        // 000000005838: D81A6100 00008138
	ds_write_b32 v56, v130 offset:21760                        // 000000005840: D81A5500 00008238
	ds_write_b32 v56, v131 offset:25856                        // 000000005848: D81A6500 00008338
	ds_write_b32 v56, v132 offset:22784                        // 000000005850: D81A5900 00008438
	ds_write_b32 v56, v133 offset:26880                        // 000000005858: D81A6900 00008538
	ds_write_b32 v56, v134 offset:23808                        // 000000005860: D81A5D00 00008638
	ds_write_b32 v56, v135 offset:27904                        // 000000005868: D81A6D00 00008738
	s_waitcnt lgkmcnt(0)                                       // 000000005870: BF8CC07F
	s_barrier                                                  // 000000005874: BF8A0000
	v_lshrrev_b32_e32 v56, 4, v0                               // 000000005878: 20700084
	v_lshlrev_b32_e32 v57, 6, v56                              // 00000000587C: 24727086
	v_and_b32_e32 v56, 15, v0                                  // 000000005880: 2670008F
	v_lshlrev_b32_e32 v56, 1, v56                              // 000000005884: 24707081
	v_add_u32_e32 v57, v56, v57                                // 000000005888: 68727338
	v_lshlrev_b32_e32 v56, 2, v57                              // 00000000588C: 24707282
	ds_read_b64 v[128:129], v56 offset:20736                   // 000000005890: D8EC5100 80000038
	ds_read_b64 v[130:131], v56 offset:20864                   // 000000005898: D8EC5180 82000038
	ds_read_b64 v[132:133], v56 offset:21760                   // 0000000058A0: D8EC5500 84000038
	ds_read_b64 v[134:135], v56 offset:21888                   // 0000000058A8: D8EC5580 86000038
	ds_read_b64 v[136:137], v56 offset:22784                   // 0000000058B0: D8EC5900 88000038
	ds_read_b64 v[138:139], v56 offset:22912                   // 0000000058B8: D8EC5980 8A000038
	ds_read_b64 v[140:141], v56 offset:23808                   // 0000000058C0: D8EC5D00 8C000038
	ds_read_b64 v[142:143], v56 offset:23936                   // 0000000058C8: D8EC5D80 8E000038
	ds_read_b64 v[144:145], v56 offset:24832                   // 0000000058D0: D8EC6100 90000038
	ds_read_b64 v[146:147], v56 offset:24960                   // 0000000058D8: D8EC6180 92000038
	ds_read_b64 v[148:149], v56 offset:25856                   // 0000000058E0: D8EC6500 94000038
	ds_read_b64 v[150:151], v56 offset:25984                   // 0000000058E8: D8EC6580 96000038
	ds_read_b64 v[152:153], v56 offset:26880                   // 0000000058F0: D8EC6900 98000038
	ds_read_b64 v[154:155], v56 offset:27008                   // 0000000058F8: D8EC6980 9A000038
	ds_read_b64 v[156:157], v56 offset:27904                   // 000000005900: D8EC6D00 9C000038
	ds_read_b64 v[158:159], v56 offset:28032                   // 000000005908: D8EC6D80 9E000038
	s_add_u32 s12, s56, s12                                    // 000000005910: 800C0C38
	s_addc_u32 s13, 0, s13                                     // 000000005914: 820D0D80
	s_add_u32 s16, s79, s16                                    // 000000005918: 8010104F
	s_addc_u32 s17, 0, s17                                     // 00000000591C: 82111180
	s_waitcnt lgkmcnt(0)                                       // 000000005920: BF8CC07F
	s_barrier                                                  // 000000005924: BF8A0000
	v_mov_b32_e32 v192, 0                                      // 000000005928: 7F800280
	v_mov_b32_e32 v224, 0                                      // 00000000592C: 7FC00280
	v_mov_b32_e32 v193, 0                                      // 000000005930: 7F820280
	v_mov_b32_e32 v225, 0                                      // 000000005934: 7FC20280
	v_mov_b32_e32 v194, 0                                      // 000000005938: 7F840280
	v_mov_b32_e32 v226, 0                                      // 00000000593C: 7FC40280
	v_mov_b32_e32 v195, 0                                      // 000000005940: 7F860280
	v_mov_b32_e32 v227, 0                                      // 000000005944: 7FC60280
	v_mov_b32_e32 v196, 0                                      // 000000005948: 7F880280
	v_mov_b32_e32 v228, 0                                      // 00000000594C: 7FC80280
	v_mov_b32_e32 v197, 0                                      // 000000005950: 7F8A0280
	v_mov_b32_e32 v229, 0                                      // 000000005954: 7FCA0280
	v_mov_b32_e32 v198, 0                                      // 000000005958: 7F8C0280
	v_mov_b32_e32 v230, 0                                      // 00000000595C: 7FCC0280
	v_mov_b32_e32 v199, 0                                      // 000000005960: 7F8E0280
	v_mov_b32_e32 v231, 0                                      // 000000005964: 7FCE0280
	v_mov_b32_e32 v200, 0                                      // 000000005968: 7F900280
	v_mov_b32_e32 v232, 0                                      // 00000000596C: 7FD00280
	v_mov_b32_e32 v201, 0                                      // 000000005970: 7F920280
	v_mov_b32_e32 v233, 0                                      // 000000005974: 7FD20280
	v_mov_b32_e32 v202, 0                                      // 000000005978: 7F940280
	v_mov_b32_e32 v234, 0                                      // 00000000597C: 7FD40280
	v_mov_b32_e32 v203, 0                                      // 000000005980: 7F960280
	v_mov_b32_e32 v235, 0                                      // 000000005984: 7FD60280
	v_mov_b32_e32 v204, 0                                      // 000000005988: 7F980280
	v_mov_b32_e32 v236, 0                                      // 00000000598C: 7FD80280
	v_mov_b32_e32 v205, 0                                      // 000000005990: 7F9A0280
	v_mov_b32_e32 v237, 0                                      // 000000005994: 7FDA0280
	v_mov_b32_e32 v206, 0                                      // 000000005998: 7F9C0280
	v_mov_b32_e32 v238, 0                                      // 00000000599C: 7FDC0280
	v_mov_b32_e32 v207, 0                                      // 0000000059A0: 7F9E0280
	v_mov_b32_e32 v239, 0                                      // 0000000059A4: 7FDE0280
	ds_write_b64 v4, v[192:193] offset:20736                   // 0000000059A8: D89A5100 0000C004
	ds_write_b64 v4, v[194:195] offset:29440                   // 0000000059B0: D89A7300 0000C204
	ds_write_b64 v4, v[196:197] offset:22912                   // 0000000059B8: D89A5980 0000C404
	ds_write_b64 v4, v[198:199] offset:31616                   // 0000000059C0: D89A7B80 0000C604
	ds_write_b64 v4, v[200:201] offset:25088                   // 0000000059C8: D89A6200 0000C804
	ds_write_b64 v4, v[202:203] offset:33792                   // 0000000059D0: D89A8400 0000CA04
	ds_write_b64 v4, v[204:205] offset:27264                   // 0000000059D8: D89A6A80 0000CC04
	ds_write_b64 v4, v[206:207] offset:35968                   // 0000000059E0: D89A8C80 0000CE04
	s_mov_b32 s80, 0                                           // 0000000059E8: BED00080
	s_waitcnt vmcnt(0) expcnt(0) lgkmcnt(0)                    // 0000000059EC: BF8C0000

00000000000059f0 <label_0AFC>:
	s_waitcnt vmcnt(28) lgkmcnt(0)                             // 0000000059F0: BF8C407C
	s_barrier                                                  // 0000000059F4: BF8A0000
	v_mfma_f32_16x16x32_fp8_fp8 v[192:195], a[0:1], v[128:129], 0// 0000000059F8: D3F300C0 0A030100
	ds_read_b32 v64, v5 offset:20736                           // 000000005A00: D86C5100 40000005
	ds_read_b32 v65, v5 offset:25088                           // 000000005A08: D86C6200 41000005
	v_mfma_f32_16x16x32_fp8_fp8 v[192:195], a[2:3], v[130:131], v[192:195]// 000000005A10: D3F300C0 0F030502
	buffer_load_dwordx4 a[64:67], v48, s[12:15], 0 offen       // 000000005A18: E05C1000 80834030
	v_mfma_f32_16x16x32_fp8_fp8 v[196:199], a[0:1], v[144:145], 0// 000000005A20: D3F300C4 0A032100
	ds_read_b32 v66, v5 offset:20768                           // 000000005A28: D86C5120 42000005
	ds_read_b32 v67, v5 offset:25120                           // 000000005A30: D86C6220 43000005
	v_mfma_f32_16x16x32_fp8_fp8 v[196:199], a[2:3], v[146:147], v[196:199]// 000000005A38: D3F300C4 0F132502
	buffer_load_dword v24, v6, s[16:19], 0 offen               // 000000005A40: E0501000 80041806
	v_mfma_f32_16x16x32_fp8_fp8 v[200:203], a[4:5], v[128:129], 0// 000000005A48: D3F300C8 0A030104
	ds_read_b32 v68, v5 offset:20800                           // 000000005A50: D86C5140 44000005
	ds_read_b32 v69, v5 offset:25152                           // 000000005A58: D86C6240 45000005
	v_mfma_f32_16x16x32_fp8_fp8 v[200:203], a[6:7], v[130:131], v[200:203]// 000000005A60: D3F300C8 0F230506
	buffer_load_dwordx4 a[68:71], v49, s[12:15], 0 offen       // 000000005A68: E05C1000 80834431
	v_mfma_f32_16x16x32_fp8_fp8 v[204:207], a[4:5], v[144:145], 0// 000000005A70: D3F300CC 0A032104
	ds_read_b32 v70, v5 offset:20832                           // 000000005A78: D86C5160 46000005
	ds_read_b32 v71, v5 offset:25184                           // 000000005A80: D86C6260 47000005
	v_mfma_f32_16x16x32_fp8_fp8 v[204:207], a[6:7], v[146:147], v[204:207]// 000000005A88: D3F300CC 0F332506
	v_mfma_f32_16x16x32_fp8_fp8 v[208:211], a[8:9], v[128:129], 0// 000000005A90: D3F300D0 0A030108
	ds_read_b32 v72, v5 offset:29440                           // 000000005A98: D86C7300 48000005
	ds_read_b32 v73, v5 offset:33792                           // 000000005AA0: D86C8400 49000005
	v_mfma_f32_16x16x32_fp8_fp8 v[208:211], a[10:11], v[130:131], v[208:211]// 000000005AA8: D3F300D0 0F43050A
	buffer_load_dwordx4 a[72:75], v50, s[12:15], 0 offen       // 000000005AB0: E05C1000 80834832
	v_mfma_f32_16x16x32_fp8_fp8 v[212:215], a[8:9], v[144:145], 0// 000000005AB8: D3F300D4 0A032108
	ds_read_b32 v74, v5 offset:29472                           // 000000005AC0: D86C7320 4A000005
	ds_read_b32 v75, v5 offset:33824                           // 000000005AC8: D86C8420 4B000005
	v_mfma_f32_16x16x32_fp8_fp8 v[212:215], a[10:11], v[146:147], v[212:215]// 000000005AD0: D3F300D4 0F53250A
	v_mfma_f32_16x16x32_fp8_fp8 v[216:219], a[12:13], v[128:129], 0// 000000005AD8: D3F300D8 0A03010C
	ds_read_b32 v76, v5 offset:29504                           // 000000005AE0: D86C7340 4C000005
	ds_read_b32 v77, v5 offset:33856                           // 000000005AE8: D86C8440 4D000005
	v_mfma_f32_16x16x32_fp8_fp8 v[216:219], a[14:15], v[130:131], v[216:219]// 000000005AF0: D3F300D8 0F63050E
	buffer_load_dwordx4 a[76:79], v51, s[12:15], 0 offen       // 000000005AF8: E05C1000 80834C33
	s_add_u32 s12, s78, s12                                    // 000000005B00: 800C0C4E
	s_addc_u32 s13, 0, s13                                     // 000000005B04: 820D0D80
	v_mfma_f32_16x16x32_fp8_fp8 v[220:223], a[12:13], v[144:145], 0// 000000005B08: D3F300DC 0A03210C
	ds_read_b32 v78, v5 offset:29536                           // 000000005B10: D86C7360 4E000005
	ds_read_b32 v79, v5 offset:33888                           // 000000005B18: D86C8460 4F000005
	v_mfma_f32_16x16x32_fp8_fp8 v[220:223], a[14:15], v[146:147], v[220:223]// 000000005B20: D3F300DC 0F73250E
	s_waitcnt vmcnt(29)                                        // 000000005B28: BF8C4F7D
	v_mfma_f32_16x16x32_fp8_fp8 v[192:195], a[16:17], v[132:133], v[192:195]// 000000005B2C: D3F300C0 0F030910
	v_mfma_f32_16x16x32_fp8_fp8 v[192:195], a[18:19], v[134:135], v[192:195]// 000000005B34: D3F300C0 0F030D12
	buffer_load_dwordx4 a[80:83], v48, s[12:15], 0 offen       // 000000005B3C: E05C1000 80835030
	v_mfma_f32_16x16x32_fp8_fp8 v[196:199], a[16:17], v[148:149], v[196:199]// 000000005B44: D3F300C4 0F132910
	v_mfma_f32_16x16x32_fp8_fp8 v[196:199], a[18:19], v[150:151], v[196:199]// 000000005B4C: D3F300C4 0F132D12
	v_mfma_f32_16x16x32_fp8_fp8 v[200:203], a[20:21], v[132:133], v[200:203]// 000000005B54: D3F300C8 0F230914
	v_mfma_f32_16x16x32_fp8_fp8 v[200:203], a[22:23], v[134:135], v[200:203]// 000000005B5C: D3F300C8 0F230D16
	buffer_load_dwordx4 a[84:87], v49, s[12:15], 0 offen       // 000000005B64: E05C1000 80835431
	v_mfma_f32_16x16x32_fp8_fp8 v[204:207], a[20:21], v[148:149], v[204:207]// 000000005B6C: D3F300CC 0F332914
	v_mfma_f32_16x16x32_fp8_fp8 v[204:207], a[22:23], v[150:151], v[204:207]// 000000005B74: D3F300CC 0F332D16
	v_mfma_f32_16x16x32_fp8_fp8 v[208:211], a[24:25], v[132:133], v[208:211]// 000000005B7C: D3F300D0 0F430918
	v_mfma_f32_16x16x32_fp8_fp8 v[208:211], a[26:27], v[134:135], v[208:211]// 000000005B84: D3F300D0 0F430D1A
	buffer_load_dwordx4 a[88:91], v50, s[12:15], 0 offen       // 000000005B8C: E05C1000 80835832
	v_mfma_f32_16x16x32_fp8_fp8 v[212:215], a[24:25], v[148:149], v[212:215]// 000000005B94: D3F300D4 0F532918
	v_mfma_f32_16x16x32_fp8_fp8 v[212:215], a[26:27], v[150:151], v[212:215]// 000000005B9C: D3F300D4 0F532D1A
	v_mfma_f32_16x16x32_fp8_fp8 v[216:219], a[28:29], v[132:133], v[216:219]// 000000005BA4: D3F300D8 0F63091C
	v_mfma_f32_16x16x32_fp8_fp8 v[216:219], a[30:31], v[134:135], v[216:219]// 000000005BAC: D3F300D8 0F630D1E
	buffer_load_dwordx4 a[92:95], v51, s[12:15], 0 offen       // 000000005BB4: E05C1000 80835C33
	s_add_u32 s12, s78, s12                                    // 000000005BBC: 800C0C4E
	s_addc_u32 s13, 0, s13                                     // 000000005BC0: 820D0D80
	v_mfma_f32_16x16x32_fp8_fp8 v[220:223], a[28:29], v[148:149], v[220:223]// 000000005BC4: D3F300DC 0F73291C
	v_mfma_f32_16x16x32_fp8_fp8 v[220:223], a[30:31], v[150:151], v[220:223]// 000000005BCC: D3F300DC 0F732D1E
	v_mul_f32_dpp v56, v23, v32 row_newbcast:0 row_mask:0xf bank_mask:0xf// 000000005BD4: 0A7040FA FF015017
	v_mov_b32_e32 v57, v56                                     // 000000005BDC: 7E720338
	v_pk_mul_f32 v[192:193], v[56:57], v[192:193]              // 000000005BE0: D3B140C0 18038138
	v_pk_mul_f32 v[194:195], v[56:57], v[194:195]              // 000000005BE8: D3B140C2 18038538
	v_pk_mul_f32 v[200:201], v[56:57], v[200:201]              // 000000005BF0: D3B140C8 18039138
	v_pk_mul_f32 v[202:203], v[56:57], v[202:203]              // 000000005BF8: D3B140CA 18039538
	v_mul_f32_dpp v56, v23, v32 row_newbcast:1 row_mask:0xf bank_mask:0xf// 000000005C00: 0A7040FA FF015117
	v_mov_b32_e32 v57, v56                                     // 000000005C08: 7E720338
	v_pk_mul_f32 v[208:209], v[56:57], v[208:209]              // 000000005C0C: D3B140D0 1803A138
	v_pk_mul_f32 v[210:211], v[56:57], v[210:211]              // 000000005C14: D3B140D2 1803A538
	v_pk_mul_f32 v[216:217], v[56:57], v[216:217]              // 000000005C1C: D3B140D8 1803B138
	v_pk_mul_f32 v[218:219], v[56:57], v[218:219]              // 000000005C24: D3B140DA 1803B538
	v_mul_f32_dpp v56, v23, v33 row_newbcast:0 row_mask:0xf bank_mask:0xf// 000000005C2C: 0A7042FA FF015017
	v_mov_b32_e32 v57, v56                                     // 000000005C34: 7E720338
	v_pk_mul_f32 v[196:197], v[56:57], v[196:197]              // 000000005C38: D3B140C4 18038938
	v_pk_mul_f32 v[198:199], v[56:57], v[198:199]              // 000000005C40: D3B140C6 18038D38
	v_pk_mul_f32 v[204:205], v[56:57], v[204:205]              // 000000005C48: D3B140CC 18039938
	v_pk_mul_f32 v[206:207], v[56:57], v[206:207]              // 000000005C50: D3B140CE 18039D38
	v_mul_f32_dpp v56, v23, v33 row_newbcast:1 row_mask:0xf bank_mask:0xf// 000000005C58: 0A7042FA FF015117
	v_mov_b32_e32 v57, v56                                     // 000000005C60: 7E720338
	v_pk_mul_f32 v[212:213], v[56:57], v[212:213]              // 000000005C64: D3B140D4 1803A938
	v_pk_mul_f32 v[214:215], v[56:57], v[214:215]              // 000000005C6C: D3B140D6 1803AD38
	v_pk_mul_f32 v[220:221], v[56:57], v[220:221]              // 000000005C74: D3B140DC 1803B938
	v_pk_mul_f32 v[222:223], v[56:57], v[222:223]              // 000000005C7C: D3B140DE 1803BD38
	s_waitcnt vmcnt(29)                                        // 000000005C84: BF8C4F7D
	v_mfma_f32_16x16x32_fp8_fp8 v[160:163], a[32:33], v[136:137], 0// 000000005C88: D3F300A0 0A031120
	ds_write_b64 v4, v[224:225] offset:38144                   // 000000005C90: D89A9500 0000E004
	v_mfma_f32_16x16x32_fp8_fp8 v[160:163], a[34:35], v[138:139], v[160:163]// 000000005C98: D3F300A0 0E831522
	buffer_load_dwordx4 a[96:99], v48, s[12:15], 0 offen       // 000000005CA0: E05C1000 80836030
	v_mfma_f32_16x16x32_fp8_fp8 v[164:167], a[32:33], v[152:153], 0// 000000005CA8: D3F300A4 0A033120
	ds_write_b64 v4, v[226:227] offset:46848                   // 000000005CB0: D89AB700 0000E204
	v_mfma_f32_16x16x32_fp8_fp8 v[164:167], a[34:35], v[154:155], v[164:167]// 000000005CB8: D3F300A4 0E933522
	v_mfma_f32_16x16x32_fp8_fp8 v[168:171], a[36:37], v[136:137], 0// 000000005CC0: D3F300A8 0A031124
	ds_write_b64 v4, v[228:229] offset:40320                   // 000000005CC8: D89A9D80 0000E404
	v_mfma_f32_16x16x32_fp8_fp8 v[168:171], a[38:39], v[138:139], v[168:171]// 000000005CD0: D3F300A8 0EA31526
	buffer_load_dwordx4 a[100:103], v49, s[12:15], 0 offen     // 000000005CD8: E05C1000 80836431
	v_mfma_f32_16x16x32_fp8_fp8 v[172:175], a[36:37], v[152:153], 0// 000000005CE0: D3F300AC 0A033124
	ds_write_b64 v4, v[230:231] offset:49024                   // 000000005CE8: D89ABF80 0000E604
	v_mfma_f32_16x16x32_fp8_fp8 v[172:175], a[38:39], v[154:155], v[172:175]// 000000005CF0: D3F300AC 0EB33526
	v_mfma_f32_16x16x32_fp8_fp8 v[176:179], a[40:41], v[136:137], 0// 000000005CF8: D3F300B0 0A031128
	ds_write_b64 v4, v[232:233] offset:42496                   // 000000005D00: D89AA600 0000E804
	v_mfma_f32_16x16x32_fp8_fp8 v[176:179], a[42:43], v[138:139], v[176:179]// 000000005D08: D3F300B0 0EC3152A
	buffer_load_dwordx4 a[104:107], v50, s[12:15], 0 offen     // 000000005D10: E05C1000 80836832
	v_mfma_f32_16x16x32_fp8_fp8 v[180:183], a[40:41], v[152:153], 0// 000000005D18: D3F300B4 0A033128
	ds_write_b64 v4, v[234:235] offset:51200                   // 000000005D20: D89AC800 0000EA04
	v_mfma_f32_16x16x32_fp8_fp8 v[180:183], a[42:43], v[154:155], v[180:183]// 000000005D28: D3F300B4 0ED3352A
	v_mfma_f32_16x16x32_fp8_fp8 v[184:187], a[44:45], v[136:137], 0// 000000005D30: D3F300B8 0A03112C
	ds_write_b64 v4, v[236:237] offset:44672                   // 000000005D38: D89AAE80 0000EC04
	v_mfma_f32_16x16x32_fp8_fp8 v[184:187], a[46:47], v[138:139], v[184:187]// 000000005D40: D3F300B8 0EE3152E
	buffer_load_dwordx4 a[108:111], v51, s[12:15], 0 offen     // 000000005D48: E05C1000 80836C33
	s_add_u32 s12, s78, s12                                    // 000000005D50: 800C0C4E
	s_addc_u32 s13, 0, s13                                     // 000000005D54: 820D0D80
	v_mfma_f32_16x16x32_fp8_fp8 v[188:191], a[44:45], v[152:153], 0// 000000005D58: D3F300BC 0A03312C
	ds_write_b64 v4, v[238:239] offset:53376                   // 000000005D60: D89AD080 0000EE04
	v_mfma_f32_16x16x32_fp8_fp8 v[188:191], a[46:47], v[154:155], v[188:191]// 000000005D68: D3F300BC 0EF3352E
	s_waitcnt vmcnt(29)                                        // 000000005D70: BF8C4F7D
	v_mfma_f32_16x16x32_fp8_fp8 v[160:163], a[48:49], v[140:141], v[160:163]// 000000005D74: D3F300A0 0E831930
	v_mfma_f32_16x16x32_fp8_fp8 v[160:163], a[50:51], v[142:143], v[160:163]// 000000005D7C: D3F300A0 0E831D32
	buffer_load_dwordx4 a[112:115], v48, s[12:15], 0 offen     // 000000005D84: E05C1000 80837030
	v_mfma_f32_16x16x32_fp8_fp8 v[164:167], a[48:49], v[156:157], v[164:167]// 000000005D8C: D3F300A4 0E933930
	v_mfma_f32_16x16x32_fp8_fp8 v[164:167], a[50:51], v[158:159], v[164:167]// 000000005D94: D3F300A4 0E933D32
	v_mfma_f32_16x16x32_fp8_fp8 v[168:171], a[52:53], v[140:141], v[168:171]// 000000005D9C: D3F300A8 0EA31934
	v_mfma_f32_16x16x32_fp8_fp8 v[168:171], a[54:55], v[142:143], v[168:171]// 000000005DA4: D3F300A8 0EA31D36
	buffer_load_dwordx4 a[116:119], v49, s[12:15], 0 offen     // 000000005DAC: E05C1000 80837431
	v_mfma_f32_16x16x32_fp8_fp8 v[172:175], a[52:53], v[156:157], v[172:175]// 000000005DB4: D3F300AC 0EB33934
	v_mfma_f32_16x16x32_fp8_fp8 v[172:175], a[54:55], v[158:159], v[172:175]// 000000005DBC: D3F300AC 0EB33D36
	v_mfma_f32_16x16x32_fp8_fp8 v[176:179], a[56:57], v[140:141], v[176:179]// 000000005DC4: D3F300B0 0EC31938
	v_mfma_f32_16x16x32_fp8_fp8 v[176:179], a[58:59], v[142:143], v[176:179]// 000000005DCC: D3F300B0 0EC31D3A
	buffer_load_dwordx4 a[120:123], v50, s[12:15], 0 offen     // 000000005DD4: E05C1000 80837832
	v_mfma_f32_16x16x32_fp8_fp8 v[180:183], a[56:57], v[156:157], v[180:183]// 000000005DDC: D3F300B4 0ED33938
	v_mfma_f32_16x16x32_fp8_fp8 v[180:183], a[58:59], v[158:159], v[180:183]// 000000005DE4: D3F300B4 0ED33D3A
	v_mfma_f32_16x16x32_fp8_fp8 v[184:187], a[60:61], v[140:141], v[184:187]// 000000005DEC: D3F300B8 0EE3193C
	v_mfma_f32_16x16x32_fp8_fp8 v[184:187], a[62:63], v[142:143], v[184:187]// 000000005DF4: D3F300B8 0EE31D3E
	buffer_load_dwordx4 a[124:127], v51, s[12:15], 0 offen     // 000000005DFC: E05C1000 80837C33
	v_mfma_f32_16x16x32_fp8_fp8 v[188:191], a[60:61], v[156:157], v[188:191]// 000000005E04: D3F300BC 0EF3393C
	v_mfma_f32_16x16x32_fp8_fp8 v[188:191], a[62:63], v[158:159], v[188:191]// 000000005E0C: D3F300BC 0EF33D3E
	v_mul_f32_dpp v56, v23, v34 row_newbcast:2 row_mask:0xf bank_mask:0xf// 000000005E14: 0A7044FA FF015217
	v_mov_b32_e32 v57, v56                                     // 000000005E1C: 7E720338
	v_pk_fma_f32 v[192:193], v[160:161], v[56:57], v[192:193]  // 000000005E20: D3B040C0 1F0271A0
	v_pk_fma_f32 v[194:195], v[162:163], v[56:57], v[194:195]  // 000000005E28: D3B040C2 1F0A71A2
	v_pk_fma_f32 v[200:201], v[168:169], v[56:57], v[200:201]  // 000000005E30: D3B040C8 1F2271A8
	v_pk_fma_f32 v[202:203], v[170:171], v[56:57], v[202:203]  // 000000005E38: D3B040CA 1F2A71AA
	v_mul_f32_dpp v56, v23, v34 row_newbcast:3 row_mask:0xf bank_mask:0xf// 000000005E40: 0A7044FA FF015317
	v_mov_b32_e32 v57, v56                                     // 000000005E48: 7E720338
	v_pk_fma_f32 v[208:209], v[176:177], v[56:57], v[208:209]  // 000000005E4C: D3B040D0 1F4271B0
	v_pk_fma_f32 v[210:211], v[178:179], v[56:57], v[210:211]  // 000000005E54: D3B040D2 1F4A71B2
	v_pk_fma_f32 v[216:217], v[184:185], v[56:57], v[216:217]  // 000000005E5C: D3B040D8 1F6271B8
	v_pk_fma_f32 v[218:219], v[186:187], v[56:57], v[218:219]  // 000000005E64: D3B040DA 1F6A71BA
	v_mul_f32_dpp v56, v23, v35 row_newbcast:2 row_mask:0xf bank_mask:0xf// 000000005E6C: 0A7046FA FF015217
	v_mov_b32_e32 v57, v56                                     // 000000005E74: 7E720338
	v_pk_fma_f32 v[196:197], v[164:165], v[56:57], v[196:197]  // 000000005E78: D3B040C4 1F1271A4
	v_pk_fma_f32 v[198:199], v[166:167], v[56:57], v[198:199]  // 000000005E80: D3B040C6 1F1A71A6
	v_pk_fma_f32 v[204:205], v[172:173], v[56:57], v[204:205]  // 000000005E88: D3B040CC 1F3271AC
	v_pk_fma_f32 v[206:207], v[174:175], v[56:57], v[206:207]  // 000000005E90: D3B040CE 1F3A71AE
	v_mul_f32_dpp v56, v23, v35 row_newbcast:3 row_mask:0xf bank_mask:0xf// 000000005E98: 0A7046FA FF015317
	v_mov_b32_e32 v57, v56                                     // 000000005EA0: 7E720338
	v_pk_fma_f32 v[212:213], v[180:181], v[56:57], v[212:213]  // 000000005EA4: D3B040D4 1F5271B4
	v_pk_fma_f32 v[214:215], v[182:183], v[56:57], v[214:215]  // 000000005EAC: D3B040D6 1F5A71B6
	v_pk_fma_f32 v[220:221], v[188:189], v[56:57], v[220:221]  // 000000005EB4: D3B040DC 1F7271BC
	v_pk_fma_f32 v[222:223], v[190:191], v[56:57], v[222:223]  // 000000005EBC: D3B040DE 1F7A71BE
	s_add_u32 s60, 0x200, s80                                  // 000000005EC4: 803C50FF 00000200
	s_cmp_lt_u32 s60, s81                                      // 000000005ECC: BF0A513C
	s_cselect_b32 s56, s56, 0                                  // 000000005ED0: 85388038
	s_cselect_b32 s78, s78, 0                                  // 000000005ED4: 854E804E
	s_cselect_b32 s79, s79, 0                                  // 000000005ED8: 854F804F
	s_add_u32 s12, s56, s12                                    // 000000005EDC: 800C0C38
	s_addc_u32 s13, 0, s13                                     // 000000005EE0: 820D0D80
	s_add_u32 s16, s79, s16                                    // 000000005EE4: 8010104F
	s_addc_u32 s17, 0, s17                                     // 000000005EE8: 82111180
	v_mov_b32_e32 v56, v25                                     // 000000005EEC: 7E700319
	v_mov_b32_e32 v57, v25                                     // 000000005EF0: 7E720319
	v_pk_mul_f32 v[192:193], v[56:57], v[192:193]              // 000000005EF4: D3B140C0 18038138
	v_pk_mul_f32 v[194:195], v[56:57], v[194:195]              // 000000005EFC: D3B140C2 18038538
	v_pk_mul_f32 v[200:201], v[56:57], v[200:201]              // 000000005F04: D3B140C8 18039138
	v_pk_mul_f32 v[202:203], v[56:57], v[202:203]              // 000000005F0C: D3B140CA 18039538
	v_pk_mul_f32 v[208:209], v[56:57], v[208:209]              // 000000005F14: D3B140D0 1803A138
	v_pk_mul_f32 v[210:211], v[56:57], v[210:211]              // 000000005F1C: D3B140D2 1803A538
	v_pk_mul_f32 v[216:217], v[56:57], v[216:217]              // 000000005F24: D3B140D8 1803B138
	v_pk_mul_f32 v[218:219], v[56:57], v[218:219]              // 000000005F2C: D3B140DA 1803B538
	v_mov_b32_e32 v56, v26                                     // 000000005F34: 7E70031A
	v_mov_b32_e32 v57, v26                                     // 000000005F38: 7E72031A
	v_pk_mul_f32 v[196:197], v[56:57], v[196:197]              // 000000005F3C: D3B140C4 18038938
	v_pk_mul_f32 v[198:199], v[56:57], v[198:199]              // 000000005F44: D3B140C6 18038D38
	v_pk_mul_f32 v[204:205], v[56:57], v[204:205]              // 000000005F4C: D3B140CC 18039938
	v_pk_mul_f32 v[206:207], v[56:57], v[206:207]              // 000000005F54: D3B140CE 18039D38
	v_pk_mul_f32 v[212:213], v[56:57], v[212:213]              // 000000005F5C: D3B140D4 1803A938
	v_pk_mul_f32 v[214:215], v[56:57], v[214:215]              // 000000005F64: D3B140D6 1803AD38
	v_pk_mul_f32 v[220:221], v[56:57], v[220:221]              // 000000005F6C: D3B140DC 1803B938
	v_pk_mul_f32 v[222:223], v[56:57], v[222:223]              // 000000005F74: D3B140DE 1803BD38
	v_cmp_u_f32_e64 s[48:49], v192, v192                       // 000000005F7C: D0480030 000381C0
	v_add3_u32 v52, v192, v55, 1                               // 000000005F84: D1FF0034 02066FC0
	v_cndmask_b32_e64 v56, v52, v54, s[48:49]                  // 000000005F8C: D1000038 00C26D34
	v_cmp_u_f32_e64 s[48:49], v193, v193                       // 000000005F94: D0480030 000383C1
	v_add3_u32 v52, v193, v55, 1                               // 000000005F9C: D1FF0034 02066FC1
	v_cndmask_b32_e64 v57, v52, v54, s[48:49]                  // 000000005FA4: D1000039 00C26D34
	v_perm_b32 v192, v57, v56, s52                             // 000000005FAC: D1ED00C0 00D27139
	v_cmp_u_f32_e64 s[48:49], v194, v194                       // 000000005FB4: D0480030 000385C2
	v_add3_u32 v52, v194, v55, 1                               // 000000005FBC: D1FF0034 02066FC2
	v_cndmask_b32_e64 v56, v52, v54, s[48:49]                  // 000000005FC4: D1000038 00C26D34
	v_cmp_u_f32_e64 s[48:49], v195, v195                       // 000000005FCC: D0480030 000387C3
	v_add3_u32 v52, v195, v55, 1                               // 000000005FD4: D1FF0034 02066FC3
	v_cndmask_b32_e64 v57, v52, v54, s[48:49]                  // 000000005FDC: D1000039 00C26D34
	v_perm_b32 v193, v57, v56, s52                             // 000000005FE4: D1ED00C1 00D27139
	v_cmp_u_f32_e64 s[48:49], v196, v196                       // 000000005FEC: D0480030 000389C4
	v_add3_u32 v52, v196, v55, 1                               // 000000005FF4: D1FF0034 02066FC4
	v_cndmask_b32_e64 v56, v52, v54, s[48:49]                  // 000000005FFC: D1000038 00C26D34
	v_cmp_u_f32_e64 s[48:49], v197, v197                       // 000000006004: D0480030 00038BC5
	v_add3_u32 v52, v197, v55, 1                               // 00000000600C: D1FF0034 02066FC5
	v_cndmask_b32_e64 v57, v52, v54, s[48:49]                  // 000000006014: D1000039 00C26D34
	v_perm_b32 v194, v57, v56, s52                             // 00000000601C: D1ED00C2 00D27139
	v_cmp_u_f32_e64 s[48:49], v198, v198                       // 000000006024: D0480030 00038DC6
	v_add3_u32 v52, v198, v55, 1                               // 00000000602C: D1FF0034 02066FC6
	v_cndmask_b32_e64 v56, v52, v54, s[48:49]                  // 000000006034: D1000038 00C26D34
	v_cmp_u_f32_e64 s[48:49], v199, v199                       // 00000000603C: D0480030 00038FC7
	v_add3_u32 v52, v199, v55, 1                               // 000000006044: D1FF0034 02066FC7
	v_cndmask_b32_e64 v57, v52, v54, s[48:49]                  // 00000000604C: D1000039 00C26D34
	v_perm_b32 v195, v57, v56, s52                             // 000000006054: D1ED00C3 00D27139
	v_cmp_u_f32_e64 s[48:49], v200, v200                       // 00000000605C: D0480030 000391C8
	v_add3_u32 v52, v200, v55, 1                               // 000000006064: D1FF0034 02066FC8
	v_cndmask_b32_e64 v56, v52, v54, s[48:49]                  // 00000000606C: D1000038 00C26D34
	v_cmp_u_f32_e64 s[48:49], v201, v201                       // 000000006074: D0480030 000393C9
	v_add3_u32 v52, v201, v55, 1                               // 00000000607C: D1FF0034 02066FC9
	v_cndmask_b32_e64 v57, v52, v54, s[48:49]                  // 000000006084: D1000039 00C26D34
	v_perm_b32 v196, v57, v56, s52                             // 00000000608C: D1ED00C4 00D27139
	v_cmp_u_f32_e64 s[48:49], v202, v202                       // 000000006094: D0480030 000395CA
	v_add3_u32 v52, v202, v55, 1                               // 00000000609C: D1FF0034 02066FCA
	v_cndmask_b32_e64 v56, v52, v54, s[48:49]                  // 0000000060A4: D1000038 00C26D34
	v_cmp_u_f32_e64 s[48:49], v203, v203                       // 0000000060AC: D0480030 000397CB
	v_add3_u32 v52, v203, v55, 1                               // 0000000060B4: D1FF0034 02066FCB
	v_cndmask_b32_e64 v57, v52, v54, s[48:49]                  // 0000000060BC: D1000039 00C26D34
	v_perm_b32 v197, v57, v56, s52                             // 0000000060C4: D1ED00C5 00D27139
	v_cmp_u_f32_e64 s[48:49], v204, v204                       // 0000000060CC: D0480030 000399CC
	v_add3_u32 v52, v204, v55, 1                               // 0000000060D4: D1FF0034 02066FCC
	v_cndmask_b32_e64 v56, v52, v54, s[48:49]                  // 0000000060DC: D1000038 00C26D34
	v_cmp_u_f32_e64 s[48:49], v205, v205                       // 0000000060E4: D0480030 00039BCD
	v_add3_u32 v52, v205, v55, 1                               // 0000000060EC: D1FF0034 02066FCD
	v_cndmask_b32_e64 v57, v52, v54, s[48:49]                  // 0000000060F4: D1000039 00C26D34
	v_perm_b32 v198, v57, v56, s52                             // 0000000060FC: D1ED00C6 00D27139
	v_cmp_u_f32_e64 s[48:49], v206, v206                       // 000000006104: D0480030 00039DCE
	v_add3_u32 v52, v206, v55, 1                               // 00000000610C: D1FF0034 02066FCE
	v_cndmask_b32_e64 v56, v52, v54, s[48:49]                  // 000000006114: D1000038 00C26D34
	v_cmp_u_f32_e64 s[48:49], v207, v207                       // 00000000611C: D0480030 00039FCF
	v_add3_u32 v52, v207, v55, 1                               // 000000006124: D1FF0034 02066FCF
	v_cndmask_b32_e64 v57, v52, v54, s[48:49]                  // 00000000612C: D1000039 00C26D34
	v_perm_b32 v199, v57, v56, s52                             // 000000006134: D1ED00C7 00D27139
	v_cmp_u_f32_e64 s[48:49], v208, v208                       // 00000000613C: D0480030 0003A1D0
	v_add3_u32 v52, v208, v55, 1                               // 000000006144: D1FF0034 02066FD0
	v_cndmask_b32_e64 v56, v52, v54, s[48:49]                  // 00000000614C: D1000038 00C26D34
	v_cmp_u_f32_e64 s[48:49], v209, v209                       // 000000006154: D0480030 0003A3D1
	v_add3_u32 v52, v209, v55, 1                               // 00000000615C: D1FF0034 02066FD1
	v_cndmask_b32_e64 v57, v52, v54, s[48:49]                  // 000000006164: D1000039 00C26D34
	v_perm_b32 v200, v57, v56, s52                             // 00000000616C: D1ED00C8 00D27139
	v_cmp_u_f32_e64 s[48:49], v210, v210                       // 000000006174: D0480030 0003A5D2
	v_add3_u32 v52, v210, v55, 1                               // 00000000617C: D1FF0034 02066FD2
	v_cndmask_b32_e64 v56, v52, v54, s[48:49]                  // 000000006184: D1000038 00C26D34
	v_cmp_u_f32_e64 s[48:49], v211, v211                       // 00000000618C: D0480030 0003A7D3
	v_add3_u32 v52, v211, v55, 1                               // 000000006194: D1FF0034 02066FD3
	v_cndmask_b32_e64 v57, v52, v54, s[48:49]                  // 00000000619C: D1000039 00C26D34
	v_perm_b32 v201, v57, v56, s52                             // 0000000061A4: D1ED00C9 00D27139
	v_cmp_u_f32_e64 s[48:49], v212, v212                       // 0000000061AC: D0480030 0003A9D4
	v_add3_u32 v52, v212, v55, 1                               // 0000000061B4: D1FF0034 02066FD4
	v_cndmask_b32_e64 v56, v52, v54, s[48:49]                  // 0000000061BC: D1000038 00C26D34
	v_cmp_u_f32_e64 s[48:49], v213, v213                       // 0000000061C4: D0480030 0003ABD5
	v_add3_u32 v52, v213, v55, 1                               // 0000000061CC: D1FF0034 02066FD5
	v_cndmask_b32_e64 v57, v52, v54, s[48:49]                  // 0000000061D4: D1000039 00C26D34
	v_perm_b32 v202, v57, v56, s52                             // 0000000061DC: D1ED00CA 00D27139
	v_cmp_u_f32_e64 s[48:49], v214, v214                       // 0000000061E4: D0480030 0003ADD6
	v_add3_u32 v52, v214, v55, 1                               // 0000000061EC: D1FF0034 02066FD6
	v_cndmask_b32_e64 v56, v52, v54, s[48:49]                  // 0000000061F4: D1000038 00C26D34
	v_cmp_u_f32_e64 s[48:49], v215, v215                       // 0000000061FC: D0480030 0003AFD7
	v_add3_u32 v52, v215, v55, 1                               // 000000006204: D1FF0034 02066FD7
	v_cndmask_b32_e64 v57, v52, v54, s[48:49]                  // 00000000620C: D1000039 00C26D34
	v_perm_b32 v203, v57, v56, s52                             // 000000006214: D1ED00CB 00D27139
	v_cmp_u_f32_e64 s[48:49], v216, v216                       // 00000000621C: D0480030 0003B1D8
	v_add3_u32 v52, v216, v55, 1                               // 000000006224: D1FF0034 02066FD8
	v_cndmask_b32_e64 v56, v52, v54, s[48:49]                  // 00000000622C: D1000038 00C26D34
	v_cmp_u_f32_e64 s[48:49], v217, v217                       // 000000006234: D0480030 0003B3D9
	v_add3_u32 v52, v217, v55, 1                               // 00000000623C: D1FF0034 02066FD9
	v_cndmask_b32_e64 v57, v52, v54, s[48:49]                  // 000000006244: D1000039 00C26D34
	v_perm_b32 v204, v57, v56, s52                             // 00000000624C: D1ED00CC 00D27139
	v_cmp_u_f32_e64 s[48:49], v218, v218                       // 000000006254: D0480030 0003B5DA
	v_add3_u32 v52, v218, v55, 1                               // 00000000625C: D1FF0034 02066FDA
	v_cndmask_b32_e64 v56, v52, v54, s[48:49]                  // 000000006264: D1000038 00C26D34
	v_cmp_u_f32_e64 s[48:49], v219, v219                       // 00000000626C: D0480030 0003B7DB
	v_add3_u32 v52, v219, v55, 1                               // 000000006274: D1FF0034 02066FDB
	v_cndmask_b32_e64 v57, v52, v54, s[48:49]                  // 00000000627C: D1000039 00C26D34
	v_perm_b32 v205, v57, v56, s52                             // 000000006284: D1ED00CD 00D27139
	v_cmp_u_f32_e64 s[48:49], v220, v220                       // 00000000628C: D0480030 0003B9DC
	v_add3_u32 v52, v220, v55, 1                               // 000000006294: D1FF0034 02066FDC
	v_cndmask_b32_e64 v56, v52, v54, s[48:49]                  // 00000000629C: D1000038 00C26D34
	v_cmp_u_f32_e64 s[48:49], v221, v221                       // 0000000062A4: D0480030 0003BBDD
	v_add3_u32 v52, v221, v55, 1                               // 0000000062AC: D1FF0034 02066FDD
	v_cndmask_b32_e64 v57, v52, v54, s[48:49]                  // 0000000062B4: D1000039 00C26D34
	v_perm_b32 v206, v57, v56, s52                             // 0000000062BC: D1ED00CE 00D27139
	v_cmp_u_f32_e64 s[48:49], v222, v222                       // 0000000062C4: D0480030 0003BDDE
	v_add3_u32 v52, v222, v55, 1                               // 0000000062CC: D1FF0034 02066FDE
	v_cndmask_b32_e64 v56, v52, v54, s[48:49]                  // 0000000062D4: D1000038 00C26D34
	v_cmp_u_f32_e64 s[48:49], v223, v223                       // 0000000062DC: D0480030 0003BFDF
	v_add3_u32 v52, v223, v55, 1                               // 0000000062E4: D1FF0034 02066FDF
	v_cndmask_b32_e64 v57, v52, v54, s[48:49]                  // 0000000062EC: D1000039 00C26D34
	v_perm_b32 v207, v57, v56, s52                             // 0000000062F4: D1ED00CF 00D27139
	s_cmp_ge_u32 s80, 0x200                                    // 0000000062FC: BF09FF50 00000200
	s_cselect_b32 s59, 0x200, s59                              // 000000006304: 853B3BFF 00000200
	s_mov_b64 exec, s[20:21]                                   // 00000000630C: BEFE0114
	global_atomic_pk_add_bf16 v80, v64, s[8:9]                 // 000000006310: DD488000 00084050
	s_mov_b64 exec, s[36:37]                                   // 000000006318: BEFE0124
	s_mov_b64 exec, s[20:21]                                   // 00000000631C: BEFE0114
	global_atomic_pk_add_bf16 v80, v65, s[8:9] offset:256      // 000000006320: DD488100 00084150
	s_mov_b64 exec, s[36:37]                                   // 000000006328: BEFE0124
	s_mov_b64 exec, s[22:23]                                   // 00000000632C: BEFE0116
	global_atomic_pk_add_bf16 v82, v66, s[8:9]                 // 000000006330: DD488000 00084252
	s_mov_b64 exec, s[36:37]                                   // 000000006338: BEFE0124
	s_mov_b64 exec, s[22:23]                                   // 00000000633C: BEFE0116
	global_atomic_pk_add_bf16 v82, v67, s[8:9] offset:256      // 000000006340: DD488100 00084352
	s_mov_b64 exec, s[36:37]                                   // 000000006348: BEFE0124
	s_mov_b64 exec, s[24:25]                                   // 00000000634C: BEFE0118
	global_atomic_pk_add_bf16 v84, v68, s[8:9]                 // 000000006350: DD488000 00084454
	s_mov_b64 exec, s[36:37]                                   // 000000006358: BEFE0124
	s_mov_b64 exec, s[24:25]                                   // 00000000635C: BEFE0118
	global_atomic_pk_add_bf16 v84, v69, s[8:9] offset:256      // 000000006360: DD488100 00084554
	s_mov_b64 exec, s[36:37]                                   // 000000006368: BEFE0124
	s_mov_b64 exec, s[26:27]                                   // 00000000636C: BEFE011A
	global_atomic_pk_add_bf16 v86, v70, s[8:9]                 // 000000006370: DD488000 00084656
	s_mov_b64 exec, s[36:37]                                   // 000000006378: BEFE0124
	s_mov_b64 exec, s[26:27]                                   // 00000000637C: BEFE011A
	global_atomic_pk_add_bf16 v86, v71, s[8:9] offset:256      // 000000006380: DD488100 00084756
	s_mov_b64 exec, s[36:37]                                   // 000000006388: BEFE0124
	s_mov_b64 exec, s[28:29]                                   // 00000000638C: BEFE011C
	global_atomic_pk_add_bf16 v88, v72, s[8:9]                 // 000000006390: DD488000 00084858
	s_mov_b64 exec, s[36:37]                                   // 000000006398: BEFE0124
	s_mov_b64 exec, s[28:29]                                   // 00000000639C: BEFE011C
	global_atomic_pk_add_bf16 v88, v73, s[8:9] offset:256      // 0000000063A0: DD488100 00084958
	s_mov_b64 exec, s[36:37]                                   // 0000000063A8: BEFE0124
	s_mov_b64 exec, s[30:31]                                   // 0000000063AC: BEFE011E
	global_atomic_pk_add_bf16 v90, v74, s[8:9]                 // 0000000063B0: DD488000 00084A5A
	s_mov_b64 exec, s[36:37]                                   // 0000000063B8: BEFE0124
	s_mov_b64 exec, s[30:31]                                   // 0000000063BC: BEFE011E
	global_atomic_pk_add_bf16 v90, v75, s[8:9] offset:256      // 0000000063C0: DD488100 00084B5A
	s_mov_b64 exec, s[36:37]                                   // 0000000063C8: BEFE0124
	s_mov_b64 exec, s[32:33]                                   // 0000000063CC: BEFE0120
	global_atomic_pk_add_bf16 v92, v76, s[8:9]                 // 0000000063D0: DD488000 00084C5C
	s_mov_b64 exec, s[36:37]                                   // 0000000063D8: BEFE0124
	s_mov_b64 exec, s[32:33]                                   // 0000000063DC: BEFE0120
	global_atomic_pk_add_bf16 v92, v77, s[8:9] offset:256      // 0000000063E0: DD488100 00084D5C
	s_mov_b64 exec, s[36:37]                                   // 0000000063E8: BEFE0124
	s_mov_b64 exec, s[34:35]                                   // 0000000063EC: BEFE0122
	global_atomic_pk_add_bf16 v94, v78, s[8:9]                 // 0000000063F0: DD488000 00084E5E
	s_mov_b64 exec, s[36:37]                                   // 0000000063F8: BEFE0124
	s_mov_b64 exec, s[34:35]                                   // 0000000063FC: BEFE0122
	global_atomic_pk_add_bf16 v94, v79, s[8:9] offset:256      // 000000006400: DD488100 00084F5E
	s_mov_b64 exec, s[36:37]                                   // 000000006408: BEFE0124
	s_add_u32 s8, s59, s8                                      // 00000000640C: 8008083B
	s_addc_u32 s9, 0, s9                                       // 000000006410: 82090980
	s_addk_i32 s80, 0x100                                      // 000000006414: B7500100
	s_cmp_lt_i32 s80, s81                                      // 000000006418: BF045150
	s_cbranch_scc0 label_1015                                  // 00000000641C: BF84028D
	s_waitcnt vmcnt(28) lgkmcnt(0)                             // 000000006420: BF8C407C
	s_barrier                                                  // 000000006424: BF8A0000
	v_mfma_f32_16x16x32_fp8_fp8 v[224:227], a[64:65], v[128:129], 0// 000000006428: D3F300E0 0A030140
	ds_read_b32 v64, v5 offset:38144                           // 000000006430: D86C9500 40000005
	ds_read_b32 v65, v5 offset:42496                           // 000000006438: D86CA600 41000005
	v_mfma_f32_16x16x32_fp8_fp8 v[224:227], a[66:67], v[130:131], v[224:227]// 000000006440: D3F300E0 0F830542
	buffer_load_dwordx4 a[0:3], v48, s[12:15], 0 offen         // 000000006448: E05C1000 80830030
	v_mfma_f32_16x16x32_fp8_fp8 v[228:231], a[64:65], v[144:145], 0// 000000006450: D3F300E4 0A032140
	ds_read_b32 v66, v5 offset:38176                           // 000000006458: D86C9520 42000005
	ds_read_b32 v67, v5 offset:42528                           // 000000006460: D86CA620 43000005
	v_mfma_f32_16x16x32_fp8_fp8 v[228:231], a[66:67], v[146:147], v[228:231]// 000000006468: D3F300E4 0F932542
	buffer_load_dword v23, v6, s[16:19], 0 offen               // 000000006470: E0501000 80041706
	v_mfma_f32_16x16x32_fp8_fp8 v[232:235], a[68:69], v[128:129], 0// 000000006478: D3F300E8 0A030144
	ds_read_b32 v68, v5 offset:38208                           // 000000006480: D86C9540 44000005
	ds_read_b32 v69, v5 offset:42560                           // 000000006488: D86CA640 45000005
	v_mfma_f32_16x16x32_fp8_fp8 v[232:235], a[70:71], v[130:131], v[232:235]// 000000006490: D3F300E8 0FA30546
	buffer_load_dwordx4 a[4:7], v49, s[12:15], 0 offen         // 000000006498: E05C1000 80830431
	v_mfma_f32_16x16x32_fp8_fp8 v[236:239], a[68:69], v[144:145], 0// 0000000064A0: D3F300EC 0A032144
	ds_read_b32 v70, v5 offset:38240                           // 0000000064A8: D86C9560 46000005
	ds_read_b32 v71, v5 offset:42592                           // 0000000064B0: D86CA660 47000005
	v_mfma_f32_16x16x32_fp8_fp8 v[236:239], a[70:71], v[146:147], v[236:239]// 0000000064B8: D3F300EC 0FB32546
	v_mfma_f32_16x16x32_fp8_fp8 v[240:243], a[72:73], v[128:129], 0// 0000000064C0: D3F300F0 0A030148
	ds_read_b32 v72, v5 offset:46848                           // 0000000064C8: D86CB700 48000005
	ds_read_b32 v73, v5 offset:51200                           // 0000000064D0: D86CC800 49000005
	v_mfma_f32_16x16x32_fp8_fp8 v[240:243], a[74:75], v[130:131], v[240:243]// 0000000064D8: D3F300F0 0FC3054A
	buffer_load_dwordx4 a[8:11], v50, s[12:15], 0 offen        // 0000000064E0: E05C1000 80830832
	v_mfma_f32_16x16x32_fp8_fp8 v[244:247], a[72:73], v[144:145], 0// 0000000064E8: D3F300F4 0A032148
	ds_read_b32 v74, v5 offset:46880                           // 0000000064F0: D86CB720 4A000005
	ds_read_b32 v75, v5 offset:51232                           // 0000000064F8: D86CC820 4B000005
	v_mfma_f32_16x16x32_fp8_fp8 v[244:247], a[74:75], v[146:147], v[244:247]// 000000006500: D3F300F4 0FD3254A
	v_mfma_f32_16x16x32_fp8_fp8 v[248:251], a[76:77], v[128:129], 0// 000000006508: D3F300F8 0A03014C
	ds_read_b32 v76, v5 offset:46912                           // 000000006510: D86CB740 4C000005
	ds_read_b32 v77, v5 offset:51264                           // 000000006518: D86CC840 4D000005
	v_mfma_f32_16x16x32_fp8_fp8 v[248:251], a[78:79], v[130:131], v[248:251]// 000000006520: D3F300F8 0FE3054E
	buffer_load_dwordx4 a[12:15], v51, s[12:15], 0 offen       // 000000006528: E05C1000 80830C33
	s_add_u32 s12, s78, s12                                    // 000000006530: 800C0C4E
	s_addc_u32 s13, 0, s13                                     // 000000006534: 820D0D80
	v_mfma_f32_16x16x32_fp8_fp8 v[252:255], a[76:77], v[144:145], 0// 000000006538: D3F300FC 0A03214C
	ds_read_b32 v78, v5 offset:46944                           // 000000006540: D86CB760 4E000005
	ds_read_b32 v79, v5 offset:51296                           // 000000006548: D86CC860 4F000005
	v_mfma_f32_16x16x32_fp8_fp8 v[252:255], a[78:79], v[146:147], v[252:255]// 000000006550: D3F300FC 0FF3254E
	s_waitcnt vmcnt(29)                                        // 000000006558: BF8C4F7D
	v_mfma_f32_16x16x32_fp8_fp8 v[224:227], a[80:81], v[132:133], v[224:227]// 00000000655C: D3F300E0 0F830950
	v_mfma_f32_16x16x32_fp8_fp8 v[224:227], a[82:83], v[134:135], v[224:227]// 000000006564: D3F300E0 0F830D52
	buffer_load_dwordx4 a[16:19], v48, s[12:15], 0 offen       // 00000000656C: E05C1000 80831030
	v_mfma_f32_16x16x32_fp8_fp8 v[228:231], a[80:81], v[148:149], v[228:231]// 000000006574: D3F300E4 0F932950
	v_mfma_f32_16x16x32_fp8_fp8 v[228:231], a[82:83], v[150:151], v[228:231]// 00000000657C: D3F300E4 0F932D52
	v_mfma_f32_16x16x32_fp8_fp8 v[232:235], a[84:85], v[132:133], v[232:235]// 000000006584: D3F300E8 0FA30954
	v_mfma_f32_16x16x32_fp8_fp8 v[232:235], a[86:87], v[134:135], v[232:235]// 00000000658C: D3F300E8 0FA30D56
	buffer_load_dwordx4 a[20:23], v49, s[12:15], 0 offen       // 000000006594: E05C1000 80831431
	v_mfma_f32_16x16x32_fp8_fp8 v[236:239], a[84:85], v[148:149], v[236:239]// 00000000659C: D3F300EC 0FB32954
	v_mfma_f32_16x16x32_fp8_fp8 v[236:239], a[86:87], v[150:151], v[236:239]// 0000000065A4: D3F300EC 0FB32D56
	v_mfma_f32_16x16x32_fp8_fp8 v[240:243], a[88:89], v[132:133], v[240:243]// 0000000065AC: D3F300F0 0FC30958
	v_mfma_f32_16x16x32_fp8_fp8 v[240:243], a[90:91], v[134:135], v[240:243]// 0000000065B4: D3F300F0 0FC30D5A
	buffer_load_dwordx4 a[24:27], v50, s[12:15], 0 offen       // 0000000065BC: E05C1000 80831832
	v_mfma_f32_16x16x32_fp8_fp8 v[244:247], a[88:89], v[148:149], v[244:247]// 0000000065C4: D3F300F4 0FD32958
	v_mfma_f32_16x16x32_fp8_fp8 v[244:247], a[90:91], v[150:151], v[244:247]// 0000000065CC: D3F300F4 0FD32D5A
	v_mfma_f32_16x16x32_fp8_fp8 v[248:251], a[92:93], v[132:133], v[248:251]// 0000000065D4: D3F300F8 0FE3095C
	v_mfma_f32_16x16x32_fp8_fp8 v[248:251], a[94:95], v[134:135], v[248:251]// 0000000065DC: D3F300F8 0FE30D5E
	buffer_load_dwordx4 a[28:31], v51, s[12:15], 0 offen       // 0000000065E4: E05C1000 80831C33
	s_add_u32 s12, s78, s12                                    // 0000000065EC: 800C0C4E
	s_addc_u32 s13, 0, s13                                     // 0000000065F0: 820D0D80
	v_mfma_f32_16x16x32_fp8_fp8 v[252:255], a[92:93], v[148:149], v[252:255]// 0000000065F4: D3F300FC 0FF3295C
	v_mfma_f32_16x16x32_fp8_fp8 v[252:255], a[94:95], v[150:151], v[252:255]// 0000000065FC: D3F300FC 0FF32D5E
	v_mul_f32_dpp v56, v24, v32 row_newbcast:0 row_mask:0xf bank_mask:0xf// 000000006604: 0A7040FA FF015018
	v_mov_b32_e32 v57, v56                                     // 00000000660C: 7E720338
	v_pk_mul_f32 v[224:225], v[56:57], v[224:225]              // 000000006610: D3B140E0 1803C138
	v_pk_mul_f32 v[226:227], v[56:57], v[226:227]              // 000000006618: D3B140E2 1803C538
	v_pk_mul_f32 v[232:233], v[56:57], v[232:233]              // 000000006620: D3B140E8 1803D138
	v_pk_mul_f32 v[234:235], v[56:57], v[234:235]              // 000000006628: D3B140EA 1803D538
	v_mul_f32_dpp v56, v24, v32 row_newbcast:1 row_mask:0xf bank_mask:0xf// 000000006630: 0A7040FA FF015118
	v_mov_b32_e32 v57, v56                                     // 000000006638: 7E720338
	v_pk_mul_f32 v[240:241], v[56:57], v[240:241]              // 00000000663C: D3B140F0 1803E138
	v_pk_mul_f32 v[242:243], v[56:57], v[242:243]              // 000000006644: D3B140F2 1803E538
	v_pk_mul_f32 v[248:249], v[56:57], v[248:249]              // 00000000664C: D3B140F8 1803F138
	v_pk_mul_f32 v[250:251], v[56:57], v[250:251]              // 000000006654: D3B140FA 1803F538
	v_mul_f32_dpp v56, v24, v33 row_newbcast:0 row_mask:0xf bank_mask:0xf// 00000000665C: 0A7042FA FF015018
	v_mov_b32_e32 v57, v56                                     // 000000006664: 7E720338
	v_pk_mul_f32 v[228:229], v[56:57], v[228:229]              // 000000006668: D3B140E4 1803C938
	v_pk_mul_f32 v[230:231], v[56:57], v[230:231]              // 000000006670: D3B140E6 1803CD38
	v_pk_mul_f32 v[236:237], v[56:57], v[236:237]              // 000000006678: D3B140EC 1803D938
	v_pk_mul_f32 v[238:239], v[56:57], v[238:239]              // 000000006680: D3B140EE 1803DD38
	v_mul_f32_dpp v56, v24, v33 row_newbcast:1 row_mask:0xf bank_mask:0xf// 000000006688: 0A7042FA FF015118
	v_mov_b32_e32 v57, v56                                     // 000000006690: 7E720338
	v_pk_mul_f32 v[244:245], v[56:57], v[244:245]              // 000000006694: D3B140F4 1803E938
	v_pk_mul_f32 v[246:247], v[56:57], v[246:247]              // 00000000669C: D3B140F6 1803ED38
	v_pk_mul_f32 v[252:253], v[56:57], v[252:253]              // 0000000066A4: D3B140FC 1803F938
	v_pk_mul_f32 v[254:255], v[56:57], v[254:255]              // 0000000066AC: D3B140FE 1803FD38
	s_waitcnt vmcnt(29)                                        // 0000000066B4: BF8C4F7D
	v_mfma_f32_16x16x32_fp8_fp8 v[160:163], a[96:97], v[136:137], 0// 0000000066B8: D3F300A0 0A031160
	ds_write_b64 v4, v[192:193] offset:20736                   // 0000000066C0: D89A5100 0000C004
	v_mfma_f32_16x16x32_fp8_fp8 v[160:163], a[98:99], v[138:139], v[160:163]// 0000000066C8: D3F300A0 0E831562
	buffer_load_dwordx4 a[32:35], v48, s[12:15], 0 offen       // 0000000066D0: E05C1000 80832030
	v_mfma_f32_16x16x32_fp8_fp8 v[164:167], a[96:97], v[152:153], 0// 0000000066D8: D3F300A4 0A033160
	ds_write_b64 v4, v[194:195] offset:29440                   // 0000000066E0: D89A7300 0000C204
	v_mfma_f32_16x16x32_fp8_fp8 v[164:167], a[98:99], v[154:155], v[164:167]// 0000000066E8: D3F300A4 0E933562
	v_mfma_f32_16x16x32_fp8_fp8 v[168:171], a[100:101], v[136:137], 0// 0000000066F0: D3F300A8 0A031164
	ds_write_b64 v4, v[196:197] offset:22912                   // 0000000066F8: D89A5980 0000C404
	v_mfma_f32_16x16x32_fp8_fp8 v[168:171], a[102:103], v[138:139], v[168:171]// 000000006700: D3F300A8 0EA31566
	buffer_load_dwordx4 a[36:39], v49, s[12:15], 0 offen       // 000000006708: E05C1000 80832431
	v_mfma_f32_16x16x32_fp8_fp8 v[172:175], a[100:101], v[152:153], 0// 000000006710: D3F300AC 0A033164
	ds_write_b64 v4, v[198:199] offset:31616                   // 000000006718: D89A7B80 0000C604
	v_mfma_f32_16x16x32_fp8_fp8 v[172:175], a[102:103], v[154:155], v[172:175]// 000000006720: D3F300AC 0EB33566
	v_mfma_f32_16x16x32_fp8_fp8 v[176:179], a[104:105], v[136:137], 0// 000000006728: D3F300B0 0A031168
	ds_write_b64 v4, v[200:201] offset:25088                   // 000000006730: D89A6200 0000C804
	v_mfma_f32_16x16x32_fp8_fp8 v[176:179], a[106:107], v[138:139], v[176:179]// 000000006738: D3F300B0 0EC3156A
	buffer_load_dwordx4 a[40:43], v50, s[12:15], 0 offen       // 000000006740: E05C1000 80832832
	v_mfma_f32_16x16x32_fp8_fp8 v[180:183], a[104:105], v[152:153], 0// 000000006748: D3F300B4 0A033168
	ds_write_b64 v4, v[202:203] offset:33792                   // 000000006750: D89A8400 0000CA04
	v_mfma_f32_16x16x32_fp8_fp8 v[180:183], a[106:107], v[154:155], v[180:183]// 000000006758: D3F300B4 0ED3356A
	v_mfma_f32_16x16x32_fp8_fp8 v[184:187], a[108:109], v[136:137], 0// 000000006760: D3F300B8 0A03116C
	ds_write_b64 v4, v[204:205] offset:27264                   // 000000006768: D89A6A80 0000CC04
	v_mfma_f32_16x16x32_fp8_fp8 v[184:187], a[110:111], v[138:139], v[184:187]// 000000006770: D3F300B8 0EE3156E
	buffer_load_dwordx4 a[44:47], v51, s[12:15], 0 offen       // 000000006778: E05C1000 80832C33
	s_add_u32 s12, s78, s12                                    // 000000006780: 800C0C4E
	s_addc_u32 s13, 0, s13                                     // 000000006784: 820D0D80
	v_mfma_f32_16x16x32_fp8_fp8 v[188:191], a[108:109], v[152:153], 0// 000000006788: D3F300BC 0A03316C
	ds_write_b64 v4, v[206:207] offset:35968                   // 000000006790: D89A8C80 0000CE04
	v_mfma_f32_16x16x32_fp8_fp8 v[188:191], a[110:111], v[154:155], v[188:191]// 000000006798: D3F300BC 0EF3356E
	s_waitcnt vmcnt(29)                                        // 0000000067A0: BF8C4F7D
	v_mfma_f32_16x16x32_fp8_fp8 v[160:163], a[112:113], v[140:141], v[160:163]// 0000000067A4: D3F300A0 0E831970
	v_mfma_f32_16x16x32_fp8_fp8 v[160:163], a[114:115], v[142:143], v[160:163]// 0000000067AC: D3F300A0 0E831D72
	buffer_load_dwordx4 a[48:51], v48, s[12:15], 0 offen       // 0000000067B4: E05C1000 80833030
	v_mfma_f32_16x16x32_fp8_fp8 v[164:167], a[112:113], v[156:157], v[164:167]// 0000000067BC: D3F300A4 0E933970
	v_mfma_f32_16x16x32_fp8_fp8 v[164:167], a[114:115], v[158:159], v[164:167]// 0000000067C4: D3F300A4 0E933D72
	v_mfma_f32_16x16x32_fp8_fp8 v[168:171], a[116:117], v[140:141], v[168:171]// 0000000067CC: D3F300A8 0EA31974
	v_mfma_f32_16x16x32_fp8_fp8 v[168:171], a[118:119], v[142:143], v[168:171]// 0000000067D4: D3F300A8 0EA31D76
	buffer_load_dwordx4 a[52:55], v49, s[12:15], 0 offen       // 0000000067DC: E05C1000 80833431
	v_mfma_f32_16x16x32_fp8_fp8 v[172:175], a[116:117], v[156:157], v[172:175]// 0000000067E4: D3F300AC 0EB33974
	v_mfma_f32_16x16x32_fp8_fp8 v[172:175], a[118:119], v[158:159], v[172:175]// 0000000067EC: D3F300AC 0EB33D76
	v_mfma_f32_16x16x32_fp8_fp8 v[176:179], a[120:121], v[140:141], v[176:179]// 0000000067F4: D3F300B0 0EC31978
	v_mfma_f32_16x16x32_fp8_fp8 v[176:179], a[122:123], v[142:143], v[176:179]// 0000000067FC: D3F300B0 0EC31D7A
	buffer_load_dwordx4 a[56:59], v50, s[12:15], 0 offen       // 000000006804: E05C1000 80833832
	v_mfma_f32_16x16x32_fp8_fp8 v[180:183], a[120:121], v[156:157], v[180:183]// 00000000680C: D3F300B4 0ED33978
	v_mfma_f32_16x16x32_fp8_fp8 v[180:183], a[122:123], v[158:159], v[180:183]// 000000006814: D3F300B4 0ED33D7A
	v_mfma_f32_16x16x32_fp8_fp8 v[184:187], a[124:125], v[140:141], v[184:187]// 00000000681C: D3F300B8 0EE3197C
	v_mfma_f32_16x16x32_fp8_fp8 v[184:187], a[126:127], v[142:143], v[184:187]// 000000006824: D3F300B8 0EE31D7E
	buffer_load_dwordx4 a[60:63], v51, s[12:15], 0 offen       // 00000000682C: E05C1000 80833C33
	v_mfma_f32_16x16x32_fp8_fp8 v[188:191], a[124:125], v[156:157], v[188:191]// 000000006834: D3F300BC 0EF3397C
	v_mfma_f32_16x16x32_fp8_fp8 v[188:191], a[126:127], v[158:159], v[188:191]// 00000000683C: D3F300BC 0EF33D7E
	v_mul_f32_dpp v56, v24, v34 row_newbcast:2 row_mask:0xf bank_mask:0xf// 000000006844: 0A7044FA FF015218
	v_mov_b32_e32 v57, v56                                     // 00000000684C: 7E720338
	v_pk_fma_f32 v[224:225], v[160:161], v[56:57], v[224:225]  // 000000006850: D3B040E0 1F8271A0
	v_pk_fma_f32 v[226:227], v[162:163], v[56:57], v[226:227]  // 000000006858: D3B040E2 1F8A71A2
	v_pk_fma_f32 v[232:233], v[168:169], v[56:57], v[232:233]  // 000000006860: D3B040E8 1FA271A8
	v_pk_fma_f32 v[234:235], v[170:171], v[56:57], v[234:235]  // 000000006868: D3B040EA 1FAA71AA
	v_mul_f32_dpp v56, v24, v34 row_newbcast:3 row_mask:0xf bank_mask:0xf// 000000006870: 0A7044FA FF015318
	v_mov_b32_e32 v57, v56                                     // 000000006878: 7E720338
	v_pk_fma_f32 v[240:241], v[176:177], v[56:57], v[240:241]  // 00000000687C: D3B040F0 1FC271B0
	v_pk_fma_f32 v[242:243], v[178:179], v[56:57], v[242:243]  // 000000006884: D3B040F2 1FCA71B2
	v_pk_fma_f32 v[248:249], v[184:185], v[56:57], v[248:249]  // 00000000688C: D3B040F8 1FE271B8
	v_pk_fma_f32 v[250:251], v[186:187], v[56:57], v[250:251]  // 000000006894: D3B040FA 1FEA71BA
	v_mul_f32_dpp v56, v24, v35 row_newbcast:2 row_mask:0xf bank_mask:0xf// 00000000689C: 0A7046FA FF015218
	v_mov_b32_e32 v57, v56                                     // 0000000068A4: 7E720338
	v_pk_fma_f32 v[228:229], v[164:165], v[56:57], v[228:229]  // 0000000068A8: D3B040E4 1F9271A4
	v_pk_fma_f32 v[230:231], v[166:167], v[56:57], v[230:231]  // 0000000068B0: D3B040E6 1F9A71A6
	v_pk_fma_f32 v[236:237], v[172:173], v[56:57], v[236:237]  // 0000000068B8: D3B040EC 1FB271AC
	v_pk_fma_f32 v[238:239], v[174:175], v[56:57], v[238:239]  // 0000000068C0: D3B040EE 1FBA71AE
	v_mul_f32_dpp v56, v24, v35 row_newbcast:3 row_mask:0xf bank_mask:0xf// 0000000068C8: 0A7046FA FF015318
	v_mov_b32_e32 v57, v56                                     // 0000000068D0: 7E720338
	v_pk_fma_f32 v[244:245], v[180:181], v[56:57], v[244:245]  // 0000000068D4: D3B040F4 1FD271B4
	v_pk_fma_f32 v[246:247], v[182:183], v[56:57], v[246:247]  // 0000000068DC: D3B040F6 1FDA71B6
	v_pk_fma_f32 v[252:253], v[188:189], v[56:57], v[252:253]  // 0000000068E4: D3B040FC 1FF271BC
	v_pk_fma_f32 v[254:255], v[190:191], v[56:57], v[254:255]  // 0000000068EC: D3B040FE 1FFA71BE
	s_add_u32 s60, 0x200, s80                                  // 0000000068F4: 803C50FF 00000200
	s_cmp_lt_u32 s60, s81                                      // 0000000068FC: BF0A513C
	s_cselect_b32 s56, s56, 0                                  // 000000006900: 85388038
	s_cselect_b32 s78, s78, 0                                  // 000000006904: 854E804E
	s_cselect_b32 s79, s79, 0                                  // 000000006908: 854F804F
	s_add_u32 s12, s56, s12                                    // 00000000690C: 800C0C38
	s_addc_u32 s13, 0, s13                                     // 000000006910: 820D0D80
	s_add_u32 s16, s79, s16                                    // 000000006914: 8010104F
	s_addc_u32 s17, 0, s17                                     // 000000006918: 82111180
	v_mov_b32_e32 v56, v25                                     // 00000000691C: 7E700319
	v_mov_b32_e32 v57, v25                                     // 000000006920: 7E720319
	v_pk_mul_f32 v[224:225], v[56:57], v[224:225]              // 000000006924: D3B140E0 1803C138
	v_pk_mul_f32 v[226:227], v[56:57], v[226:227]              // 00000000692C: D3B140E2 1803C538
	v_pk_mul_f32 v[232:233], v[56:57], v[232:233]              // 000000006934: D3B140E8 1803D138
	v_pk_mul_f32 v[234:235], v[56:57], v[234:235]              // 00000000693C: D3B140EA 1803D538
	v_pk_mul_f32 v[240:241], v[56:57], v[240:241]              // 000000006944: D3B140F0 1803E138
	v_pk_mul_f32 v[242:243], v[56:57], v[242:243]              // 00000000694C: D3B140F2 1803E538
	v_pk_mul_f32 v[248:249], v[56:57], v[248:249]              // 000000006954: D3B140F8 1803F138
	v_pk_mul_f32 v[250:251], v[56:57], v[250:251]              // 00000000695C: D3B140FA 1803F538
	v_mov_b32_e32 v56, v26                                     // 000000006964: 7E70031A
	v_mov_b32_e32 v57, v26                                     // 000000006968: 7E72031A
	v_pk_mul_f32 v[228:229], v[56:57], v[228:229]              // 00000000696C: D3B140E4 1803C938
	v_pk_mul_f32 v[230:231], v[56:57], v[230:231]              // 000000006974: D3B140E6 1803CD38
	v_pk_mul_f32 v[236:237], v[56:57], v[236:237]              // 00000000697C: D3B140EC 1803D938
	v_pk_mul_f32 v[238:239], v[56:57], v[238:239]              // 000000006984: D3B140EE 1803DD38
	v_pk_mul_f32 v[244:245], v[56:57], v[244:245]              // 00000000698C: D3B140F4 1803E938
	v_pk_mul_f32 v[246:247], v[56:57], v[246:247]              // 000000006994: D3B140F6 1803ED38
	v_pk_mul_f32 v[252:253], v[56:57], v[252:253]              // 00000000699C: D3B140FC 1803F938
	v_pk_mul_f32 v[254:255], v[56:57], v[254:255]              // 0000000069A4: D3B140FE 1803FD38
	v_cmp_u_f32_e64 s[48:49], v224, v224                       // 0000000069AC: D0480030 0003C1E0
	v_add3_u32 v52, v224, v55, 1                               // 0000000069B4: D1FF0034 02066FE0
	v_cndmask_b32_e64 v56, v52, v54, s[48:49]                  // 0000000069BC: D1000038 00C26D34
	v_cmp_u_f32_e64 s[48:49], v225, v225                       // 0000000069C4: D0480030 0003C3E1
	v_add3_u32 v52, v225, v55, 1                               // 0000000069CC: D1FF0034 02066FE1
	v_cndmask_b32_e64 v57, v52, v54, s[48:49]                  // 0000000069D4: D1000039 00C26D34
	v_perm_b32 v224, v57, v56, s52                             // 0000000069DC: D1ED00E0 00D27139
	v_cmp_u_f32_e64 s[48:49], v226, v226                       // 0000000069E4: D0480030 0003C5E2
	v_add3_u32 v52, v226, v55, 1                               // 0000000069EC: D1FF0034 02066FE2
	v_cndmask_b32_e64 v56, v52, v54, s[48:49]                  // 0000000069F4: D1000038 00C26D34
	v_cmp_u_f32_e64 s[48:49], v227, v227                       // 0000000069FC: D0480030 0003C7E3
	v_add3_u32 v52, v227, v55, 1                               // 000000006A04: D1FF0034 02066FE3
	v_cndmask_b32_e64 v57, v52, v54, s[48:49]                  // 000000006A0C: D1000039 00C26D34
	v_perm_b32 v225, v57, v56, s52                             // 000000006A14: D1ED00E1 00D27139
	v_cmp_u_f32_e64 s[48:49], v228, v228                       // 000000006A1C: D0480030 0003C9E4
	v_add3_u32 v52, v228, v55, 1                               // 000000006A24: D1FF0034 02066FE4
	v_cndmask_b32_e64 v56, v52, v54, s[48:49]                  // 000000006A2C: D1000038 00C26D34
	v_cmp_u_f32_e64 s[48:49], v229, v229                       // 000000006A34: D0480030 0003CBE5
	v_add3_u32 v52, v229, v55, 1                               // 000000006A3C: D1FF0034 02066FE5
	v_cndmask_b32_e64 v57, v52, v54, s[48:49]                  // 000000006A44: D1000039 00C26D34
	v_perm_b32 v226, v57, v56, s52                             // 000000006A4C: D1ED00E2 00D27139
	v_cmp_u_f32_e64 s[48:49], v230, v230                       // 000000006A54: D0480030 0003CDE6
	v_add3_u32 v52, v230, v55, 1                               // 000000006A5C: D1FF0034 02066FE6
	v_cndmask_b32_e64 v56, v52, v54, s[48:49]                  // 000000006A64: D1000038 00C26D34
	v_cmp_u_f32_e64 s[48:49], v231, v231                       // 000000006A6C: D0480030 0003CFE7
	v_add3_u32 v52, v231, v55, 1                               // 000000006A74: D1FF0034 02066FE7
	v_cndmask_b32_e64 v57, v52, v54, s[48:49]                  // 000000006A7C: D1000039 00C26D34
	v_perm_b32 v227, v57, v56, s52                             // 000000006A84: D1ED00E3 00D27139
	v_cmp_u_f32_e64 s[48:49], v232, v232                       // 000000006A8C: D0480030 0003D1E8
	v_add3_u32 v52, v232, v55, 1                               // 000000006A94: D1FF0034 02066FE8
	v_cndmask_b32_e64 v56, v52, v54, s[48:49]                  // 000000006A9C: D1000038 00C26D34
	v_cmp_u_f32_e64 s[48:49], v233, v233                       // 000000006AA4: D0480030 0003D3E9
	v_add3_u32 v52, v233, v55, 1                               // 000000006AAC: D1FF0034 02066FE9
	v_cndmask_b32_e64 v57, v52, v54, s[48:49]                  // 000000006AB4: D1000039 00C26D34
	v_perm_b32 v228, v57, v56, s52                             // 000000006ABC: D1ED00E4 00D27139
	v_cmp_u_f32_e64 s[48:49], v234, v234                       // 000000006AC4: D0480030 0003D5EA
	v_add3_u32 v52, v234, v55, 1                               // 000000006ACC: D1FF0034 02066FEA
	v_cndmask_b32_e64 v56, v52, v54, s[48:49]                  // 000000006AD4: D1000038 00C26D34
	v_cmp_u_f32_e64 s[48:49], v235, v235                       // 000000006ADC: D0480030 0003D7EB
	v_add3_u32 v52, v235, v55, 1                               // 000000006AE4: D1FF0034 02066FEB
	v_cndmask_b32_e64 v57, v52, v54, s[48:49]                  // 000000006AEC: D1000039 00C26D34
	v_perm_b32 v229, v57, v56, s52                             // 000000006AF4: D1ED00E5 00D27139
	v_cmp_u_f32_e64 s[48:49], v236, v236                       // 000000006AFC: D0480030 0003D9EC
	v_add3_u32 v52, v236, v55, 1                               // 000000006B04: D1FF0034 02066FEC
	v_cndmask_b32_e64 v56, v52, v54, s[48:49]                  // 000000006B0C: D1000038 00C26D34
	v_cmp_u_f32_e64 s[48:49], v237, v237                       // 000000006B14: D0480030 0003DBED
	v_add3_u32 v52, v237, v55, 1                               // 000000006B1C: D1FF0034 02066FED
	v_cndmask_b32_e64 v57, v52, v54, s[48:49]                  // 000000006B24: D1000039 00C26D34
	v_perm_b32 v230, v57, v56, s52                             // 000000006B2C: D1ED00E6 00D27139
	v_cmp_u_f32_e64 s[48:49], v238, v238                       // 000000006B34: D0480030 0003DDEE
	v_add3_u32 v52, v238, v55, 1                               // 000000006B3C: D1FF0034 02066FEE
	v_cndmask_b32_e64 v56, v52, v54, s[48:49]                  // 000000006B44: D1000038 00C26D34
	v_cmp_u_f32_e64 s[48:49], v239, v239                       // 000000006B4C: D0480030 0003DFEF
	v_add3_u32 v52, v239, v55, 1                               // 000000006B54: D1FF0034 02066FEF
	v_cndmask_b32_e64 v57, v52, v54, s[48:49]                  // 000000006B5C: D1000039 00C26D34
	v_perm_b32 v231, v57, v56, s52                             // 000000006B64: D1ED00E7 00D27139
	v_cmp_u_f32_e64 s[48:49], v240, v240                       // 000000006B6C: D0480030 0003E1F0
	v_add3_u32 v52, v240, v55, 1                               // 000000006B74: D1FF0034 02066FF0
	v_cndmask_b32_e64 v56, v52, v54, s[48:49]                  // 000000006B7C: D1000038 00C26D34
	v_cmp_u_f32_e64 s[48:49], v241, v241                       // 000000006B84: D0480030 0003E3F1
	v_add3_u32 v52, v241, v55, 1                               // 000000006B8C: D1FF0034 02066FF1
	v_cndmask_b32_e64 v57, v52, v54, s[48:49]                  // 000000006B94: D1000039 00C26D34
	v_perm_b32 v232, v57, v56, s52                             // 000000006B9C: D1ED00E8 00D27139
	v_cmp_u_f32_e64 s[48:49], v242, v242                       // 000000006BA4: D0480030 0003E5F2
	v_add3_u32 v52, v242, v55, 1                               // 000000006BAC: D1FF0034 02066FF2
	v_cndmask_b32_e64 v56, v52, v54, s[48:49]                  // 000000006BB4: D1000038 00C26D34
	v_cmp_u_f32_e64 s[48:49], v243, v243                       // 000000006BBC: D0480030 0003E7F3
	v_add3_u32 v52, v243, v55, 1                               // 000000006BC4: D1FF0034 02066FF3
	v_cndmask_b32_e64 v57, v52, v54, s[48:49]                  // 000000006BCC: D1000039 00C26D34
	v_perm_b32 v233, v57, v56, s52                             // 000000006BD4: D1ED00E9 00D27139
	v_cmp_u_f32_e64 s[48:49], v244, v244                       // 000000006BDC: D0480030 0003E9F4
	v_add3_u32 v52, v244, v55, 1                               // 000000006BE4: D1FF0034 02066FF4
	v_cndmask_b32_e64 v56, v52, v54, s[48:49]                  // 000000006BEC: D1000038 00C26D34
	v_cmp_u_f32_e64 s[48:49], v245, v245                       // 000000006BF4: D0480030 0003EBF5
	v_add3_u32 v52, v245, v55, 1                               // 000000006BFC: D1FF0034 02066FF5
	v_cndmask_b32_e64 v57, v52, v54, s[48:49]                  // 000000006C04: D1000039 00C26D34
	v_perm_b32 v234, v57, v56, s52                             // 000000006C0C: D1ED00EA 00D27139
	v_cmp_u_f32_e64 s[48:49], v246, v246                       // 000000006C14: D0480030 0003EDF6
	v_add3_u32 v52, v246, v55, 1                               // 000000006C1C: D1FF0034 02066FF6
	v_cndmask_b32_e64 v56, v52, v54, s[48:49]                  // 000000006C24: D1000038 00C26D34
	v_cmp_u_f32_e64 s[48:49], v247, v247                       // 000000006C2C: D0480030 0003EFF7
	v_add3_u32 v52, v247, v55, 1                               // 000000006C34: D1FF0034 02066FF7
	v_cndmask_b32_e64 v57, v52, v54, s[48:49]                  // 000000006C3C: D1000039 00C26D34
	v_perm_b32 v235, v57, v56, s52                             // 000000006C44: D1ED00EB 00D27139
	v_cmp_u_f32_e64 s[48:49], v248, v248                       // 000000006C4C: D0480030 0003F1F8
	v_add3_u32 v52, v248, v55, 1                               // 000000006C54: D1FF0034 02066FF8
	v_cndmask_b32_e64 v56, v52, v54, s[48:49]                  // 000000006C5C: D1000038 00C26D34
	v_cmp_u_f32_e64 s[48:49], v249, v249                       // 000000006C64: D0480030 0003F3F9
	v_add3_u32 v52, v249, v55, 1                               // 000000006C6C: D1FF0034 02066FF9
	v_cndmask_b32_e64 v57, v52, v54, s[48:49]                  // 000000006C74: D1000039 00C26D34
	v_perm_b32 v236, v57, v56, s52                             // 000000006C7C: D1ED00EC 00D27139
	v_cmp_u_f32_e64 s[48:49], v250, v250                       // 000000006C84: D0480030 0003F5FA
	v_add3_u32 v52, v250, v55, 1                               // 000000006C8C: D1FF0034 02066FFA
	v_cndmask_b32_e64 v56, v52, v54, s[48:49]                  // 000000006C94: D1000038 00C26D34
	v_cmp_u_f32_e64 s[48:49], v251, v251                       // 000000006C9C: D0480030 0003F7FB
	v_add3_u32 v52, v251, v55, 1                               // 000000006CA4: D1FF0034 02066FFB
	v_cndmask_b32_e64 v57, v52, v54, s[48:49]                  // 000000006CAC: D1000039 00C26D34
	v_perm_b32 v237, v57, v56, s52                             // 000000006CB4: D1ED00ED 00D27139
	v_cmp_u_f32_e64 s[48:49], v252, v252                       // 000000006CBC: D0480030 0003F9FC
	v_add3_u32 v52, v252, v55, 1                               // 000000006CC4: D1FF0034 02066FFC
	v_cndmask_b32_e64 v56, v52, v54, s[48:49]                  // 000000006CCC: D1000038 00C26D34
	v_cmp_u_f32_e64 s[48:49], v253, v253                       // 000000006CD4: D0480030 0003FBFD
	v_add3_u32 v52, v253, v55, 1                               // 000000006CDC: D1FF0034 02066FFD
	v_cndmask_b32_e64 v57, v52, v54, s[48:49]                  // 000000006CE4: D1000039 00C26D34
	v_perm_b32 v238, v57, v56, s52                             // 000000006CEC: D1ED00EE 00D27139
	v_cmp_u_f32_e64 s[48:49], v254, v254                       // 000000006CF4: D0480030 0003FDFE
	v_add3_u32 v52, v254, v55, 1                               // 000000006CFC: D1FF0034 02066FFE
	v_cndmask_b32_e64 v56, v52, v54, s[48:49]                  // 000000006D04: D1000038 00C26D34
	v_cmp_u_f32_e64 s[48:49], v255, v255                       // 000000006D0C: D0480030 0003FFFF
	v_add3_u32 v52, v255, v55, 1                               // 000000006D14: D1FF0034 02066FFF
	v_cndmask_b32_e64 v57, v52, v54, s[48:49]                  // 000000006D1C: D1000039 00C26D34
	v_perm_b32 v239, v57, v56, s52                             // 000000006D24: D1ED00EF 00D27139
	s_cmp_ge_u32 s80, 0x200                                    // 000000006D2C: BF09FF50 00000200
	s_cselect_b32 s59, 0x200, s59                              // 000000006D34: 853B3BFF 00000200
	s_mov_b64 exec, s[20:21]                                   // 000000006D3C: BEFE0114
	global_atomic_pk_add_bf16 v80, v64, s[8:9]                 // 000000006D40: DD488000 00084050
	s_mov_b64 exec, s[36:37]                                   // 000000006D48: BEFE0124
	s_mov_b64 exec, s[20:21]                                   // 000000006D4C: BEFE0114
	global_atomic_pk_add_bf16 v80, v65, s[8:9] offset:256      // 000000006D50: DD488100 00084150
	s_mov_b64 exec, s[36:37]                                   // 000000006D58: BEFE0124
	s_mov_b64 exec, s[22:23]                                   // 000000006D5C: BEFE0116
	global_atomic_pk_add_bf16 v82, v66, s[8:9]                 // 000000006D60: DD488000 00084252
	s_mov_b64 exec, s[36:37]                                   // 000000006D68: BEFE0124
	s_mov_b64 exec, s[22:23]                                   // 000000006D6C: BEFE0116
	global_atomic_pk_add_bf16 v82, v67, s[8:9] offset:256      // 000000006D70: DD488100 00084352
	s_mov_b64 exec, s[36:37]                                   // 000000006D78: BEFE0124
	s_mov_b64 exec, s[24:25]                                   // 000000006D7C: BEFE0118
	global_atomic_pk_add_bf16 v84, v68, s[8:9]                 // 000000006D80: DD488000 00084454
	s_mov_b64 exec, s[36:37]                                   // 000000006D88: BEFE0124
	s_mov_b64 exec, s[24:25]                                   // 000000006D8C: BEFE0118
	global_atomic_pk_add_bf16 v84, v69, s[8:9] offset:256      // 000000006D90: DD488100 00084554
	s_mov_b64 exec, s[36:37]                                   // 000000006D98: BEFE0124
	s_mov_b64 exec, s[26:27]                                   // 000000006D9C: BEFE011A
	global_atomic_pk_add_bf16 v86, v70, s[8:9]                 // 000000006DA0: DD488000 00084656
	s_mov_b64 exec, s[36:37]                                   // 000000006DA8: BEFE0124
	s_mov_b64 exec, s[26:27]                                   // 000000006DAC: BEFE011A
	global_atomic_pk_add_bf16 v86, v71, s[8:9] offset:256      // 000000006DB0: DD488100 00084756
	s_mov_b64 exec, s[36:37]                                   // 000000006DB8: BEFE0124
	s_mov_b64 exec, s[28:29]                                   // 000000006DBC: BEFE011C
	global_atomic_pk_add_bf16 v88, v72, s[8:9]                 // 000000006DC0: DD488000 00084858
	s_mov_b64 exec, s[36:37]                                   // 000000006DC8: BEFE0124
	s_mov_b64 exec, s[28:29]                                   // 000000006DCC: BEFE011C
	global_atomic_pk_add_bf16 v88, v73, s[8:9] offset:256      // 000000006DD0: DD488100 00084958
	s_mov_b64 exec, s[36:37]                                   // 000000006DD8: BEFE0124
	s_mov_b64 exec, s[30:31]                                   // 000000006DDC: BEFE011E
	global_atomic_pk_add_bf16 v90, v74, s[8:9]                 // 000000006DE0: DD488000 00084A5A
	s_mov_b64 exec, s[36:37]                                   // 000000006DE8: BEFE0124
	s_mov_b64 exec, s[30:31]                                   // 000000006DEC: BEFE011E
	global_atomic_pk_add_bf16 v90, v75, s[8:9] offset:256      // 000000006DF0: DD488100 00084B5A
	s_mov_b64 exec, s[36:37]                                   // 000000006DF8: BEFE0124
	s_mov_b64 exec, s[32:33]                                   // 000000006DFC: BEFE0120
	global_atomic_pk_add_bf16 v92, v76, s[8:9]                 // 000000006E00: DD488000 00084C5C
	s_mov_b64 exec, s[36:37]                                   // 000000006E08: BEFE0124
	s_mov_b64 exec, s[32:33]                                   // 000000006E0C: BEFE0120
	global_atomic_pk_add_bf16 v92, v77, s[8:9] offset:256      // 000000006E10: DD488100 00084D5C
	s_mov_b64 exec, s[36:37]                                   // 000000006E18: BEFE0124
	s_mov_b64 exec, s[34:35]                                   // 000000006E1C: BEFE0122
	global_atomic_pk_add_bf16 v94, v78, s[8:9]                 // 000000006E20: DD488000 00084E5E
	s_mov_b64 exec, s[36:37]                                   // 000000006E28: BEFE0124
	s_mov_b64 exec, s[34:35]                                   // 000000006E2C: BEFE0122
	global_atomic_pk_add_bf16 v94, v79, s[8:9] offset:256      // 000000006E30: DD488100 00084F5E
	s_mov_b64 exec, s[36:37]                                   // 000000006E38: BEFE0124
	s_add_u32 s8, s59, s8                                      // 000000006E3C: 8008083B
	s_addc_u32 s9, 0, s9                                       // 000000006E40: 82090980
	s_addk_i32 s80, 0x100                                      // 000000006E44: B7500100
	s_cmp_lt_i32 s80, s81                                      // 000000006E48: BF045150
	s_cbranch_scc0 label_1015                                  // 000000006E4C: BF840001
	s_branch label_0AFC                                        // 000000006E50: BF82FAE7

0000000000006e54 <label_1015>:
	s_nop 0                                                    // 000000006E54: BF800000
	s_nop 0                                                    // 000000006E58: BF800000
	s_branch label_1D3D                                        // 000000006E5C: BF820D25

0000000000006e60 <label_1018>:
	s_waitcnt vmcnt(8) lgkmcnt(0)                              // 000000006E60: BF8C0078
	s_barrier                                                  // 000000006E64: BF8A0000
	v_mfma_f32_16x16x32_fp8_fp8 v[160:163], a[0:1], v[192:193], 0// 000000006E68: D3F300A0 0A038100
	buffer_load_dwordx4 a[64:67], v44, s[92:95], 0 offen       // 000000006E70: E05C1000 8097402C
	v_mfma_f32_16x16x32_fp8_fp8 v[160:163], a[2:3], v[194:195], v[160:163]// 000000006E78: D3F300A0 0E838502
	v_mfma_f32_16x16x32_fp8_fp8 v[160:163], a[4:5], v[196:197], v[160:163]// 000000006E80: D3F300A0 0E838904
	buffer_load_dword v36, s[20:23], 0 offen lds               // 000000006E88: E0511000 80050024
	s_add_u32 m0, 0x100, s51                                   // 000000006E90: 807C33FF 00000100
	v_mfma_f32_16x16x32_fp8_fp8 v[160:163], a[6:7], v[198:199], v[160:163]// 000000006E98: D3F300A0 0E838D06
	v_mfma_f32_16x16x32_fp8_fp8 v[164:167], a[0:1], v[208:209], 0// 000000006EA0: D3F300A4 0A03A100
	buffer_load_dwordx4 a[68:71], v44, s[92:95], 0 offen offset:1024// 000000006EA8: E05C1400 8097442C
	v_mfma_f32_16x16x32_fp8_fp8 v[164:167], a[2:3], v[210:211], v[164:167]// 000000006EB0: D3F300A4 0E93A502
	v_mfma_f32_16x16x32_fp8_fp8 v[164:167], a[4:5], v[212:213], v[164:167]// 000000006EB8: D3F300A4 0E93A904
	buffer_load_dword v37, s[20:23], 0 offen lds               // 000000006EC0: E0511000 80050025
	s_add_u32 m0, 0x200, s51                                   // 000000006EC8: 807C33FF 00000200
	v_mfma_f32_16x16x32_fp8_fp8 v[164:167], a[6:7], v[214:215], v[164:167]// 000000006ED0: D3F300A4 0E93AD06
	v_mfma_f32_16x16x32_fp8_fp8 v[168:171], a[16:17], v[192:193], 0// 000000006ED8: D3F300A8 0A038110
	buffer_load_dwordx4 a[80:83], v45, s[92:95], 0 offen       // 000000006EE0: E05C1000 8097502D
	v_mfma_f32_16x16x32_fp8_fp8 v[168:171], a[18:19], v[194:195], v[168:171]// 000000006EE8: D3F300A8 0EA38512
	v_mfma_f32_16x16x32_fp8_fp8 v[168:171], a[20:21], v[196:197], v[168:171]// 000000006EF0: D3F300A8 0EA38914
	buffer_load_dword v38, s[20:23], 0 offen lds               // 000000006EF8: E0511000 80050026
	s_add_u32 m0, 0x300, s51                                   // 000000006F00: 807C33FF 00000300
	v_mfma_f32_16x16x32_fp8_fp8 v[168:171], a[22:23], v[198:199], v[168:171]// 000000006F08: D3F300A8 0EA38D16
	v_mfma_f32_16x16x32_fp8_fp8 v[172:175], a[16:17], v[208:209], 0// 000000006F10: D3F300AC 0A03A110
	buffer_load_dwordx4 a[84:87], v45, s[92:95], 0 offen offset:1024// 000000006F18: E05C1400 8097542D
	v_mfma_f32_16x16x32_fp8_fp8 v[172:175], a[18:19], v[210:211], v[172:175]// 000000006F20: D3F300AC 0EB3A512
	v_mfma_f32_16x16x32_fp8_fp8 v[172:175], a[20:21], v[212:213], v[172:175]// 000000006F28: D3F300AC 0EB3A914
	buffer_load_dword v39, s[20:23], 0 offen lds               // 000000006F30: E0511000 80050027
	s_add_u32 m0, 0x400, s51                                   // 000000006F38: 807C33FF 00000400
	v_mfma_f32_16x16x32_fp8_fp8 v[172:175], a[22:23], v[214:215], v[172:175]// 000000006F40: D3F300AC 0EB3AD16
	v_mfma_f32_16x16x32_fp8_fp8 v[176:179], a[32:33], v[192:193], 0// 000000006F48: D3F300B0 0A038120
	buffer_load_dwordx4 a[96:99], v46, s[92:95], 0 offen       // 000000006F50: E05C1000 8097602E
	v_mfma_f32_16x16x32_fp8_fp8 v[176:179], a[34:35], v[194:195], v[176:179]// 000000006F58: D3F300B0 0EC38522
	v_mfma_f32_16x16x32_fp8_fp8 v[176:179], a[36:37], v[196:197], v[176:179]// 000000006F60: D3F300B0 0EC38924
	buffer_load_dword v40, s[20:23], 0 offen lds               // 000000006F68: E0511000 80050028
	s_add_u32 m0, 0x500, s51                                   // 000000006F70: 807C33FF 00000500
	v_mfma_f32_16x16x32_fp8_fp8 v[176:179], a[38:39], v[198:199], v[176:179]// 000000006F78: D3F300B0 0EC38D26
	v_mfma_f32_16x16x32_fp8_fp8 v[180:183], a[32:33], v[208:209], 0// 000000006F80: D3F300B4 0A03A120
	buffer_load_dwordx4 a[100:103], v46, s[92:95], 0 offen offset:1024// 000000006F88: E05C1400 8097642E
	v_mfma_f32_16x16x32_fp8_fp8 v[180:183], a[34:35], v[210:211], v[180:183]// 000000006F90: D3F300B4 0ED3A522
	v_mfma_f32_16x16x32_fp8_fp8 v[180:183], a[36:37], v[212:213], v[180:183]// 000000006F98: D3F300B4 0ED3A924
	buffer_load_dword v41, s[20:23], 0 offen lds               // 000000006FA0: E0511000 80050029
	s_add_u32 m0, 0x600, s51                                   // 000000006FA8: 807C33FF 00000600
	v_mfma_f32_16x16x32_fp8_fp8 v[180:183], a[38:39], v[214:215], v[180:183]// 000000006FB0: D3F300B4 0ED3AD26
	v_mfma_f32_16x16x32_fp8_fp8 v[184:187], a[48:49], v[192:193], 0// 000000006FB8: D3F300B8 0A038130
	buffer_load_dwordx4 a[112:115], v47, s[92:95], 0 offen     // 000000006FC0: E05C1000 8097702F
	v_mfma_f32_16x16x32_fp8_fp8 v[184:187], a[50:51], v[194:195], v[184:187]// 000000006FC8: D3F300B8 0EE38532
	v_mfma_f32_16x16x32_fp8_fp8 v[184:187], a[52:53], v[196:197], v[184:187]// 000000006FD0: D3F300B8 0EE38934
	buffer_load_dword v42, s[20:23], 0 offen lds               // 000000006FD8: E0511000 8005002A
	s_add_u32 m0, 0x700, s51                                   // 000000006FE0: 807C33FF 00000700
	v_mfma_f32_16x16x32_fp8_fp8 v[184:187], a[54:55], v[198:199], v[184:187]// 000000006FE8: D3F300B8 0EE38D36
	v_mfma_f32_16x16x32_fp8_fp8 v[188:191], a[48:49], v[208:209], 0// 000000006FF0: D3F300BC 0A03A130
	buffer_load_dwordx4 a[116:119], v47, s[92:95], 0 offen offset:1024// 000000006FF8: E05C1400 8097742F
	v_mfma_f32_16x16x32_fp8_fp8 v[188:191], a[50:51], v[210:211], v[188:191]// 000000007000: D3F300BC 0EF3A532
	v_mfma_f32_16x16x32_fp8_fp8 v[188:191], a[52:53], v[212:213], v[188:191]// 000000007008: D3F300BC 0EF3A934
	buffer_load_dword v43, s[20:23], 0 offen lds               // 000000007010: E0511000 8005002B
	s_add_u32 m0, s51, s76                                     // 000000007018: 807C4C33
	v_mfma_f32_16x16x32_fp8_fp8 v[188:191], a[54:55], v[214:215], v[188:191]// 00000000701C: D3F300BC 0EF3AD36
	buffer_load_dword v7, s[28:31], 0 offen lds                // 000000007024: E0511000 80070007
	s_add_u32 m0, 0, s50                                       // 00000000702C: 807C3280
	buffer_load_dword v24, v13, s[32:35], 0 offen              // 000000007030: E0501000 8008180D
	v_mul_f32_dpp v56, v23, v15 row_newbcast:0 row_mask:0xf bank_mask:0xf// 000000007038: 0A701EFA FF015017
	v_mov_b32_e32 v57, v56                                     // 000000007040: 7E720338
	v_pk_fma_f32 v[128:129], v[160:161], v[56:57], v[128:129]  // 000000007044: D3B04080 1E0271A0
	v_pk_fma_f32 v[130:131], v[162:163], v[56:57], v[130:131]  // 00000000704C: D3B04082 1E0A71A2
	v_pk_fma_f32 v[136:137], v[168:169], v[56:57], v[136:137]  // 000000007054: D3B04088 1E2271A8
	v_pk_fma_f32 v[138:139], v[170:171], v[56:57], v[138:139]  // 00000000705C: D3B0408A 1E2A71AA
	v_mul_f32_dpp v56, v23, v15 row_newbcast:1 row_mask:0xf bank_mask:0xf// 000000007064: 0A701EFA FF015117
	v_mov_b32_e32 v57, v56                                     // 00000000706C: 7E720338
	v_pk_fma_f32 v[144:145], v[176:177], v[56:57], v[144:145]  // 000000007070: D3B04090 1E4271B0
	v_pk_fma_f32 v[146:147], v[178:179], v[56:57], v[146:147]  // 000000007078: D3B04092 1E4A71B2
	v_pk_fma_f32 v[152:153], v[184:185], v[56:57], v[152:153]  // 000000007080: D3B04098 1E6271B8
	v_pk_fma_f32 v[154:155], v[186:187], v[56:57], v[154:155]  // 000000007088: D3B0409A 1E6A71BA
	v_mul_f32_dpp v56, v23, v16 row_newbcast:0 row_mask:0xf bank_mask:0xf// 000000007090: 0A7020FA FF015017
	v_mov_b32_e32 v57, v56                                     // 000000007098: 7E720338
	v_pk_fma_f32 v[132:133], v[164:165], v[56:57], v[132:133]  // 00000000709C: D3B04084 1E1271A4
	v_pk_fma_f32 v[134:135], v[166:167], v[56:57], v[134:135]  // 0000000070A4: D3B04086 1E1A71A6
	v_pk_fma_f32 v[140:141], v[172:173], v[56:57], v[140:141]  // 0000000070AC: D3B0408C 1E3271AC
	v_pk_fma_f32 v[142:143], v[174:175], v[56:57], v[142:143]  // 0000000070B4: D3B0408E 1E3A71AE
	v_mul_f32_dpp v56, v23, v16 row_newbcast:1 row_mask:0xf bank_mask:0xf// 0000000070BC: 0A7020FA FF015117
	v_mov_b32_e32 v57, v56                                     // 0000000070C4: 7E720338
	v_pk_fma_f32 v[148:149], v[180:181], v[56:57], v[148:149]  // 0000000070C8: D3B04094 1E5271B4
	v_pk_fma_f32 v[150:151], v[182:183], v[56:57], v[150:151]  // 0000000070D0: D3B04096 1E5A71B6
	v_pk_fma_f32 v[156:157], v[188:189], v[56:57], v[156:157]  // 0000000070D8: D3B0409C 1E7271BC
	v_pk_fma_f32 v[158:159], v[190:191], v[56:57], v[158:159]  // 0000000070E0: D3B0409E 1E7A71BE
	s_waitcnt vmcnt(22)                                        // 0000000070E8: BF8C4F76
	v_mfma_f32_16x16x32_fp8_fp8 v[160:163], a[8:9], v[200:201], 0// 0000000070EC: D3F300A0 0A039108
	buffer_load_dwordx4 a[72:75], v44, s[92:95], 0 offen offset:2048// 0000000070F4: E05C1800 8097482C
	v_mfma_f32_16x16x32_fp8_fp8 v[160:163], a[10:11], v[202:203], v[160:163]// 0000000070FC: D3F300A0 0E83950A
	v_mfma_f32_16x16x32_fp8_fp8 v[160:163], a[12:13], v[204:205], v[160:163]// 000000007104: D3F300A0 0E83990C
	v_mfma_f32_16x16x32_fp8_fp8 v[160:163], a[14:15], v[206:207], v[160:163]// 00000000710C: D3F300A0 0E839D0E
	v_mfma_f32_16x16x32_fp8_fp8 v[164:167], a[8:9], v[216:217], 0// 000000007114: D3F300A4 0A03B108
	buffer_load_dwordx4 a[76:79], v44, s[92:95], 0 offen offset:3072// 00000000711C: E05C1C00 80974C2C
	v_mfma_f32_16x16x32_fp8_fp8 v[164:167], a[10:11], v[218:219], v[164:167]// 000000007124: D3F300A4 0E93B50A
	v_mfma_f32_16x16x32_fp8_fp8 v[164:167], a[12:13], v[220:221], v[164:167]// 00000000712C: D3F300A4 0E93B90C
	v_mfma_f32_16x16x32_fp8_fp8 v[164:167], a[14:15], v[222:223], v[164:167]// 000000007134: D3F300A4 0E93BD0E
	v_mfma_f32_16x16x32_fp8_fp8 v[168:171], a[24:25], v[200:201], 0// 00000000713C: D3F300A8 0A039118
	buffer_load_dwordx4 a[88:91], v45, s[92:95], 0 offen offset:2048// 000000007144: E05C1800 8097582D
	v_mfma_f32_16x16x32_fp8_fp8 v[168:171], a[26:27], v[202:203], v[168:171]// 00000000714C: D3F300A8 0EA3951A
	v_mfma_f32_16x16x32_fp8_fp8 v[168:171], a[28:29], v[204:205], v[168:171]// 000000007154: D3F300A8 0EA3991C
	v_mfma_f32_16x16x32_fp8_fp8 v[168:171], a[30:31], v[206:207], v[168:171]// 00000000715C: D3F300A8 0EA39D1E
	v_mfma_f32_16x16x32_fp8_fp8 v[172:175], a[24:25], v[216:217], 0// 000000007164: D3F300AC 0A03B118
	buffer_load_dwordx4 a[92:95], v45, s[92:95], 0 offen offset:3072// 00000000716C: E05C1C00 80975C2D
	v_mfma_f32_16x16x32_fp8_fp8 v[172:175], a[26:27], v[218:219], v[172:175]// 000000007174: D3F300AC 0EB3B51A
	v_mfma_f32_16x16x32_fp8_fp8 v[172:175], a[28:29], v[220:221], v[172:175]// 00000000717C: D3F300AC 0EB3B91C
	v_mfma_f32_16x16x32_fp8_fp8 v[172:175], a[30:31], v[222:223], v[172:175]// 000000007184: D3F300AC 0EB3BD1E
	s_waitcnt vmcnt(22)                                        // 00000000718C: BF8C4F76
	v_mfma_f32_16x16x32_fp8_fp8 v[176:179], a[40:41], v[200:201], 0// 000000007190: D3F300B0 0A039128
	buffer_load_dwordx4 a[104:107], v46, s[92:95], 0 offen offset:2048// 000000007198: E05C1800 8097682E
	v_mfma_f32_16x16x32_fp8_fp8 v[176:179], a[42:43], v[202:203], v[176:179]// 0000000071A0: D3F300B0 0EC3952A
	v_mfma_f32_16x16x32_fp8_fp8 v[176:179], a[44:45], v[204:205], v[176:179]// 0000000071A8: D3F300B0 0EC3992C
	v_mfma_f32_16x16x32_fp8_fp8 v[176:179], a[46:47], v[206:207], v[176:179]// 0000000071B0: D3F300B0 0EC39D2E
	v_mfma_f32_16x16x32_fp8_fp8 v[180:183], a[40:41], v[216:217], 0// 0000000071B8: D3F300B4 0A03B128
	buffer_load_dwordx4 a[108:111], v46, s[92:95], 0 offen offset:3072// 0000000071C0: E05C1C00 80976C2E
	v_mfma_f32_16x16x32_fp8_fp8 v[180:183], a[42:43], v[218:219], v[180:183]// 0000000071C8: D3F300B4 0ED3B52A
	v_mfma_f32_16x16x32_fp8_fp8 v[180:183], a[44:45], v[220:221], v[180:183]// 0000000071D0: D3F300B4 0ED3B92C
	v_mfma_f32_16x16x32_fp8_fp8 v[180:183], a[46:47], v[222:223], v[180:183]// 0000000071D8: D3F300B4 0ED3BD2E
	v_mfma_f32_16x16x32_fp8_fp8 v[184:187], a[56:57], v[200:201], 0// 0000000071E0: D3F300B8 0A039138
	buffer_load_dwordx4 a[120:123], v47, s[92:95], 0 offen offset:2048// 0000000071E8: E05C1800 8097782F
	v_mfma_f32_16x16x32_fp8_fp8 v[184:187], a[58:59], v[202:203], v[184:187]// 0000000071F0: D3F300B8 0EE3953A
	v_mfma_f32_16x16x32_fp8_fp8 v[184:187], a[60:61], v[204:205], v[184:187]// 0000000071F8: D3F300B8 0EE3993C
	v_mfma_f32_16x16x32_fp8_fp8 v[184:187], a[62:63], v[206:207], v[184:187]// 000000007200: D3F300B8 0EE39D3E
	v_mfma_f32_16x16x32_fp8_fp8 v[188:191], a[56:57], v[216:217], 0// 000000007208: D3F300BC 0A03B138
	buffer_load_dwordx4 a[124:127], v47, s[92:95], 0 offen offset:3072// 000000007210: E05C1C00 80977C2F
	v_mfma_f32_16x16x32_fp8_fp8 v[188:191], a[58:59], v[218:219], v[188:191]// 000000007218: D3F300BC 0EF3B53A
	v_mfma_f32_16x16x32_fp8_fp8 v[188:191], a[60:61], v[220:221], v[188:191]// 000000007220: D3F300BC 0EF3B93C
	v_mfma_f32_16x16x32_fp8_fp8 v[188:191], a[62:63], v[222:223], v[188:191]// 000000007228: D3F300BC 0EF3BD3E
	v_mul_f32_dpp v56, v23, v17 row_newbcast:2 row_mask:0xf bank_mask:0xf// 000000007230: 0A7022FA FF015217
	v_mov_b32_e32 v57, v56                                     // 000000007238: 7E720338
	v_pk_fma_f32 v[128:129], v[160:161], v[56:57], v[128:129]  // 00000000723C: D3B04080 1E0271A0
	v_pk_fma_f32 v[130:131], v[162:163], v[56:57], v[130:131]  // 000000007244: D3B04082 1E0A71A2
	v_pk_fma_f32 v[136:137], v[168:169], v[56:57], v[136:137]  // 00000000724C: D3B04088 1E2271A8
	v_pk_fma_f32 v[138:139], v[170:171], v[56:57], v[138:139]  // 000000007254: D3B0408A 1E2A71AA
	v_mul_f32_dpp v56, v23, v17 row_newbcast:3 row_mask:0xf bank_mask:0xf// 00000000725C: 0A7022FA FF015317
	v_mov_b32_e32 v57, v56                                     // 000000007264: 7E720338
	v_pk_fma_f32 v[144:145], v[176:177], v[56:57], v[144:145]  // 000000007268: D3B04090 1E4271B0
	v_pk_fma_f32 v[146:147], v[178:179], v[56:57], v[146:147]  // 000000007270: D3B04092 1E4A71B2
	v_pk_fma_f32 v[152:153], v[184:185], v[56:57], v[152:153]  // 000000007278: D3B04098 1E6271B8
	v_pk_fma_f32 v[154:155], v[186:187], v[56:57], v[154:155]  // 000000007280: D3B0409A 1E6A71BA
	v_mul_f32_dpp v56, v23, v18 row_newbcast:2 row_mask:0xf bank_mask:0xf// 000000007288: 0A7024FA FF015217
	v_mov_b32_e32 v57, v56                                     // 000000007290: 7E720338
	v_pk_fma_f32 v[132:133], v[164:165], v[56:57], v[132:133]  // 000000007294: D3B04084 1E1271A4
	v_pk_fma_f32 v[134:135], v[166:167], v[56:57], v[134:135]  // 00000000729C: D3B04086 1E1A71A6
	v_pk_fma_f32 v[140:141], v[172:173], v[56:57], v[140:141]  // 0000000072A4: D3B0408C 1E3271AC
	v_pk_fma_f32 v[142:143], v[174:175], v[56:57], v[142:143]  // 0000000072AC: D3B0408E 1E3A71AE
	v_mul_f32_dpp v56, v23, v18 row_newbcast:3 row_mask:0xf bank_mask:0xf// 0000000072B4: 0A7024FA FF015317
	v_mov_b32_e32 v57, v56                                     // 0000000072BC: 7E720338
	v_pk_fma_f32 v[148:149], v[180:181], v[56:57], v[148:149]  // 0000000072C0: D3B04094 1E5271B4
	v_pk_fma_f32 v[150:151], v[182:183], v[56:57], v[150:151]  // 0000000072C8: D3B04096 1E5A71B6
	v_pk_fma_f32 v[156:157], v[188:189], v[56:57], v[156:157]  // 0000000072D0: D3B0409C 1E7271BC
	v_pk_fma_f32 v[158:159], v[190:191], v[56:57], v[158:159]  // 0000000072D8: D3B0409E 1E7A71BE
	s_add_u32 s60, 0x100, s80                                  // 0000000072E0: 803C50FF 00000100
	s_cmp_lt_u32 s60, s81                                      // 0000000072E8: BF0A513C
	s_cselect_b32 s4, s4, 0                                    // 0000000072EC: 85048004
	s_add_u32 s32, s4, s32                                     // 0000000072F0: 80202004
	s_addc_u32 s33, 0, s33                                     // 0000000072F4: 82212180
	s_waitcnt vmcnt(8)                                         // 0000000072F8: BF8C0F78
	s_barrier                                                  // 0000000072FC: BF8A0000
	v_mfma_f32_16x16x32_fp8_fp8 v[96:99], a[64:65], v[192:193], 0// 000000007300: D3F30060 0A038140
	buffer_load_dwordx4 a[0:3], v44, s[24:27], 0 offen         // 000000007308: E05C1000 8086002C
	v_mfma_f32_16x16x32_fp8_fp8 v[96:99], a[66:67], v[194:195], v[96:99]// 000000007310: D3F30060 0D838542
	v_mfma_f32_16x16x32_fp8_fp8 v[96:99], a[68:69], v[196:197], v[96:99]// 000000007318: D3F30060 0D838944
	buffer_load_dword v23, v11, s[32:35], 0 offen              // 000000007320: E0501000 8008170B
	v_mfma_f32_16x16x32_fp8_fp8 v[96:99], a[70:71], v[198:199], v[96:99]// 000000007328: D3F30060 0D838D46
	v_mfma_f32_16x16x32_fp8_fp8 v[100:103], a[64:65], v[208:209], 0// 000000007330: D3F30064 0A03A140
	buffer_load_dwordx4 a[4:7], v44, s[24:27], 0 offen offset:1024// 000000007338: E05C1400 8086042C
	v_mfma_f32_16x16x32_fp8_fp8 v[100:103], a[66:67], v[210:211], v[100:103]// 000000007340: D3F30064 0D93A542
	v_mfma_f32_16x16x32_fp8_fp8 v[100:103], a[68:69], v[212:213], v[100:103]// 000000007348: D3F30064 0D93A944
	v_mfma_f32_16x16x32_fp8_fp8 v[100:103], a[70:71], v[214:215], v[100:103]// 000000007350: D3F30064 0D93AD46
	v_mfma_f32_16x16x32_fp8_fp8 v[104:107], a[80:81], v[192:193], 0// 000000007358: D3F30068 0A038150
	buffer_load_dwordx4 a[16:19], v45, s[24:27], 0 offen       // 000000007360: E05C1000 8086102D
	v_mfma_f32_16x16x32_fp8_fp8 v[104:107], a[82:83], v[194:195], v[104:107]// 000000007368: D3F30068 0DA38552
	v_mfma_f32_16x16x32_fp8_fp8 v[104:107], a[84:85], v[196:197], v[104:107]// 000000007370: D3F30068 0DA38954
	v_mfma_f32_16x16x32_fp8_fp8 v[104:107], a[86:87], v[198:199], v[104:107]// 000000007378: D3F30068 0DA38D56
	v_mfma_f32_16x16x32_fp8_fp8 v[108:111], a[80:81], v[208:209], 0// 000000007380: D3F3006C 0A03A150
	buffer_load_dwordx4 a[20:23], v45, s[24:27], 0 offen offset:1024// 000000007388: E05C1400 8086142D
	v_mfma_f32_16x16x32_fp8_fp8 v[108:111], a[82:83], v[210:211], v[108:111]// 000000007390: D3F3006C 0DB3A552
	v_mfma_f32_16x16x32_fp8_fp8 v[108:111], a[84:85], v[212:213], v[108:111]// 000000007398: D3F3006C 0DB3A954
	v_mfma_f32_16x16x32_fp8_fp8 v[108:111], a[86:87], v[214:215], v[108:111]// 0000000073A0: D3F3006C 0DB3AD56
	v_mfma_f32_16x16x32_fp8_fp8 v[112:115], a[96:97], v[192:193], 0// 0000000073A8: D3F30070 0A038160
	buffer_load_dwordx4 a[32:35], v46, s[24:27], 0 offen       // 0000000073B0: E05C1000 8086202E
	v_mfma_f32_16x16x32_fp8_fp8 v[112:115], a[98:99], v[194:195], v[112:115]// 0000000073B8: D3F30070 0DC38562
	v_mfma_f32_16x16x32_fp8_fp8 v[112:115], a[100:101], v[196:197], v[112:115]// 0000000073C0: D3F30070 0DC38964
	v_mfma_f32_16x16x32_fp8_fp8 v[112:115], a[102:103], v[198:199], v[112:115]// 0000000073C8: D3F30070 0DC38D66
	v_mfma_f32_16x16x32_fp8_fp8 v[116:119], a[96:97], v[208:209], 0// 0000000073D0: D3F30074 0A03A160
	buffer_load_dwordx4 a[36:39], v46, s[24:27], 0 offen offset:1024// 0000000073D8: E05C1400 8086242E
	v_mfma_f32_16x16x32_fp8_fp8 v[116:119], a[98:99], v[210:211], v[116:119]// 0000000073E0: D3F30074 0DD3A562
	v_mfma_f32_16x16x32_fp8_fp8 v[116:119], a[100:101], v[212:213], v[116:119]// 0000000073E8: D3F30074 0DD3A964
	v_mfma_f32_16x16x32_fp8_fp8 v[116:119], a[102:103], v[214:215], v[116:119]// 0000000073F0: D3F30074 0DD3AD66
	v_mfma_f32_16x16x32_fp8_fp8 v[120:123], a[112:113], v[192:193], 0// 0000000073F8: D3F30078 0A038170
	buffer_load_dwordx4 a[48:51], v47, s[24:27], 0 offen       // 000000007400: E05C1000 8086302F
	v_mfma_f32_16x16x32_fp8_fp8 v[120:123], a[114:115], v[194:195], v[120:123]// 000000007408: D3F30078 0DE38572
	v_mfma_f32_16x16x32_fp8_fp8 v[120:123], a[116:117], v[196:197], v[120:123]// 000000007410: D3F30078 0DE38974
	v_mfma_f32_16x16x32_fp8_fp8 v[120:123], a[118:119], v[198:199], v[120:123]// 000000007418: D3F30078 0DE38D76
	v_mfma_f32_16x16x32_fp8_fp8 v[124:127], a[112:113], v[208:209], 0// 000000007420: D3F3007C 0A03A170
	buffer_load_dwordx4 a[52:55], v47, s[24:27], 0 offen offset:1024// 000000007428: E05C1400 8086342F
	v_mfma_f32_16x16x32_fp8_fp8 v[124:127], a[114:115], v[210:211], v[124:127]// 000000007430: D3F3007C 0DF3A572
	v_mfma_f32_16x16x32_fp8_fp8 v[124:127], a[116:117], v[212:213], v[124:127]// 000000007438: D3F3007C 0DF3A974
	v_mfma_f32_16x16x32_fp8_fp8 v[124:127], a[118:119], v[214:215], v[124:127]// 000000007440: D3F3007C 0DF3AD76
	v_mul_f32_dpp v56, v24, v15 row_newbcast:0 row_mask:0xf bank_mask:0xf// 000000007448: 0A701EFA FF015018
	v_mov_b32_e32 v57, v56                                     // 000000007450: 7E720338
	v_pk_fma_f32 v[64:65], v[96:97], v[56:57], v[64:65]        // 000000007454: D3B04040 1D027160
	v_pk_fma_f32 v[66:67], v[98:99], v[56:57], v[66:67]        // 00000000745C: D3B04042 1D0A7162
	v_pk_fma_f32 v[72:73], v[104:105], v[56:57], v[72:73]      // 000000007464: D3B04048 1D227168
	v_pk_fma_f32 v[74:75], v[106:107], v[56:57], v[74:75]      // 00000000746C: D3B0404A 1D2A716A
	v_mul_f32_dpp v56, v24, v15 row_newbcast:1 row_mask:0xf bank_mask:0xf// 000000007474: 0A701EFA FF015118
	v_mov_b32_e32 v57, v56                                     // 00000000747C: 7E720338
	v_pk_fma_f32 v[80:81], v[112:113], v[56:57], v[80:81]      // 000000007480: D3B04050 1D427170
	v_pk_fma_f32 v[82:83], v[114:115], v[56:57], v[82:83]      // 000000007488: D3B04052 1D4A7172
	v_pk_fma_f32 v[88:89], v[120:121], v[56:57], v[88:89]      // 000000007490: D3B04058 1D627178
	v_pk_fma_f32 v[90:91], v[122:123], v[56:57], v[90:91]      // 000000007498: D3B0405A 1D6A717A
	v_mul_f32_dpp v56, v24, v16 row_newbcast:0 row_mask:0xf bank_mask:0xf// 0000000074A0: 0A7020FA FF015018
	v_mov_b32_e32 v57, v56                                     // 0000000074A8: 7E720338
	v_pk_fma_f32 v[68:69], v[100:101], v[56:57], v[68:69]      // 0000000074AC: D3B04044 1D127164
	v_pk_fma_f32 v[70:71], v[102:103], v[56:57], v[70:71]      // 0000000074B4: D3B04046 1D1A7166
	v_pk_fma_f32 v[76:77], v[108:109], v[56:57], v[76:77]      // 0000000074BC: D3B0404C 1D32716C
	v_pk_fma_f32 v[78:79], v[110:111], v[56:57], v[78:79]      // 0000000074C4: D3B0404E 1D3A716E
	v_mul_f32_dpp v56, v24, v16 row_newbcast:1 row_mask:0xf bank_mask:0xf// 0000000074CC: 0A7020FA FF015118
	v_mov_b32_e32 v57, v56                                     // 0000000074D4: 7E720338
	v_pk_fma_f32 v[84:85], v[116:117], v[56:57], v[84:85]      // 0000000074D8: D3B04054 1D527174
	v_pk_fma_f32 v[86:87], v[118:119], v[56:57], v[86:87]      // 0000000074E0: D3B04056 1D5A7176
	v_pk_fma_f32 v[92:93], v[124:125], v[56:57], v[92:93]      // 0000000074E8: D3B0405C 1D72717C
	v_pk_fma_f32 v[94:95], v[126:127], v[56:57], v[94:95]      // 0000000074F0: D3B0405E 1D7A717E
	s_waitcnt vmcnt(13)                                        // 0000000074F8: BF8C0F7D
	v_mfma_f32_16x16x32_fp8_fp8 v[96:99], a[72:73], v[200:201], 0// 0000000074FC: D3F30060 0A039148
	buffer_load_dwordx4 a[8:11], v44, s[24:27], 0 offen offset:2048// 000000007504: E05C1800 8086082C
	v_mfma_f32_16x16x32_fp8_fp8 v[96:99], a[74:75], v[202:203], v[96:99]// 00000000750C: D3F30060 0D83954A
	v_mfma_f32_16x16x32_fp8_fp8 v[96:99], a[76:77], v[204:205], v[96:99]// 000000007514: D3F30060 0D83994C
	ds_read_b128 v[224:227], v2 offset:9344                    // 00000000751C: D9FE2480 E0000002
	ds_read_b32 v19, v3 offset:17664                           // 000000007524: D86C4500 13000003
	v_mfma_f32_16x16x32_fp8_fp8 v[96:99], a[78:79], v[206:207], v[96:99]// 00000000752C: D3F30060 0D839D4E
	v_mfma_f32_16x16x32_fp8_fp8 v[100:103], a[72:73], v[216:217], 0// 000000007534: D3F30064 0A03B148
	buffer_load_dwordx4 a[12:15], v44, s[24:27], 0 offen offset:3072// 00000000753C: E05C1C00 80860C2C
	v_mfma_f32_16x16x32_fp8_fp8 v[100:103], a[74:75], v[218:219], v[100:103]// 000000007544: D3F30064 0D93B54A
	v_mfma_f32_16x16x32_fp8_fp8 v[100:103], a[76:77], v[220:221], v[100:103]// 00000000754C: D3F30064 0D93B94C
	ds_read_b128 v[228:231], v2 offset:9408                    // 000000007554: D9FE24C0 E4000002
	ds_read_b32 v20, v3 offset:17920                           // 00000000755C: D86C4600 14000003
	v_mfma_f32_16x16x32_fp8_fp8 v[100:103], a[78:79], v[222:223], v[100:103]// 000000007564: D3F30064 0D93BD4E
	v_mfma_f32_16x16x32_fp8_fp8 v[104:107], a[88:89], v[200:201], 0// 00000000756C: D3F30068 0A039158
	buffer_load_dwordx4 a[24:27], v45, s[24:27], 0 offen offset:2048// 000000007574: E05C1800 8086182D
	v_mfma_f32_16x16x32_fp8_fp8 v[104:107], a[90:91], v[202:203], v[104:107]// 00000000757C: D3F30068 0DA3955A
	v_mfma_f32_16x16x32_fp8_fp8 v[104:107], a[92:93], v[204:205], v[104:107]// 000000007584: D3F30068 0DA3995C
	ds_read_b128 v[232:235], v2 offset:9472                    // 00000000758C: D9FE2500 E8000002
	ds_read_b32 v21, v3 offset:18176                           // 000000007594: D86C4700 15000003
	v_mfma_f32_16x16x32_fp8_fp8 v[104:107], a[94:95], v[206:207], v[104:107]// 00000000759C: D3F30068 0DA39D5E
	v_mfma_f32_16x16x32_fp8_fp8 v[108:111], a[88:89], v[216:217], 0// 0000000075A4: D3F3006C 0A03B158
	buffer_load_dwordx4 a[28:31], v45, s[24:27], 0 offen offset:3072// 0000000075AC: E05C1C00 80861C2D
	v_mfma_f32_16x16x32_fp8_fp8 v[108:111], a[90:91], v[218:219], v[108:111]// 0000000075B4: D3F3006C 0DB3B55A
	v_mfma_f32_16x16x32_fp8_fp8 v[108:111], a[92:93], v[220:221], v[108:111]// 0000000075BC: D3F3006C 0DB3B95C
	ds_read_b128 v[236:239], v2 offset:9536                    // 0000000075C4: D9FE2540 EC000002
	ds_read_b32 v22, v3 offset:18432                           // 0000000075CC: D86C4800 16000003
	v_mfma_f32_16x16x32_fp8_fp8 v[108:111], a[94:95], v[222:223], v[108:111]// 0000000075D4: D3F3006C 0DB3BD5E
	s_waitcnt vmcnt(13)                                        // 0000000075DC: BF8C0F7D
	v_mfma_f32_16x16x32_fp8_fp8 v[112:115], a[104:105], v[200:201], 0// 0000000075E0: D3F30070 0A039168
	buffer_load_dwordx4 a[40:43], v46, s[24:27], 0 offen offset:2048// 0000000075E8: E05C1800 8086282E
	v_mfma_f32_16x16x32_fp8_fp8 v[112:115], a[106:107], v[202:203], v[112:115]// 0000000075F0: D3F30070 0DC3956A
	v_mfma_f32_16x16x32_fp8_fp8 v[112:115], a[108:109], v[204:205], v[112:115]// 0000000075F8: D3F30070 0DC3996C
	ds_read_b128 v[240:243], v2 offset:10368                   // 000000007600: D9FE2880 F0000002
	v_mfma_f32_16x16x32_fp8_fp8 v[112:115], a[110:111], v[206:207], v[112:115]// 000000007608: D3F30070 0DC39D6E
	v_mfma_f32_16x16x32_fp8_fp8 v[116:119], a[104:105], v[216:217], 0// 000000007610: D3F30074 0A03B168
	buffer_load_dwordx4 a[44:47], v46, s[24:27], 0 offen offset:3072// 000000007618: E05C1C00 80862C2E
	v_mfma_f32_16x16x32_fp8_fp8 v[116:119], a[106:107], v[218:219], v[116:119]// 000000007620: D3F30074 0DD3B56A
	v_mfma_f32_16x16x32_fp8_fp8 v[116:119], a[108:109], v[220:221], v[116:119]// 000000007628: D3F30074 0DD3B96C
	ds_read_b128 v[244:247], v2 offset:10432                   // 000000007630: D9FE28C0 F4000002
	v_mfma_f32_16x16x32_fp8_fp8 v[116:119], a[110:111], v[222:223], v[116:119]// 000000007638: D3F30074 0DD3BD6E
	v_mfma_f32_16x16x32_fp8_fp8 v[120:123], a[120:121], v[200:201], 0// 000000007640: D3F30078 0A039178
	buffer_load_dwordx4 a[56:59], v47, s[24:27], 0 offen offset:2048// 000000007648: E05C1800 8086382F
	v_mfma_f32_16x16x32_fp8_fp8 v[120:123], a[122:123], v[202:203], v[120:123]// 000000007650: D3F30078 0DE3957A
	v_mfma_f32_16x16x32_fp8_fp8 v[120:123], a[124:125], v[204:205], v[120:123]// 000000007658: D3F30078 0DE3997C
	ds_read_b128 v[248:251], v2 offset:10496                   // 000000007660: D9FE2900 F8000002
	v_mfma_f32_16x16x32_fp8_fp8 v[120:123], a[126:127], v[206:207], v[120:123]// 000000007668: D3F30078 0DE39D7E
	v_mfma_f32_16x16x32_fp8_fp8 v[124:127], a[120:121], v[216:217], 0// 000000007670: D3F3007C 0A03B178
	buffer_load_dwordx4 a[60:63], v47, s[24:27], 0 offen offset:3072// 000000007678: E05C1C00 80863C2F
	v_mfma_f32_16x16x32_fp8_fp8 v[124:127], a[122:123], v[218:219], v[124:127]// 000000007680: D3F3007C 0DF3B57A
	v_mfma_f32_16x16x32_fp8_fp8 v[124:127], a[124:125], v[220:221], v[124:127]// 000000007688: D3F3007C 0DF3B97C
	ds_read_b128 v[252:255], v2 offset:10560                   // 000000007690: D9FE2940 FC000002
	v_mfma_f32_16x16x32_fp8_fp8 v[124:127], a[126:127], v[222:223], v[124:127]// 000000007698: D3F3007C 0DF3BD7E
	v_mul_f32_dpp v56, v24, v17 row_newbcast:2 row_mask:0xf bank_mask:0xf// 0000000076A0: 0A7022FA FF015218
	v_mov_b32_e32 v57, v56                                     // 0000000076A8: 7E720338
	v_pk_fma_f32 v[64:65], v[96:97], v[56:57], v[64:65]        // 0000000076AC: D3B04040 1D027160
	v_pk_fma_f32 v[66:67], v[98:99], v[56:57], v[66:67]        // 0000000076B4: D3B04042 1D0A7162
	v_pk_fma_f32 v[72:73], v[104:105], v[56:57], v[72:73]      // 0000000076BC: D3B04048 1D227168
	v_pk_fma_f32 v[74:75], v[106:107], v[56:57], v[74:75]      // 0000000076C4: D3B0404A 1D2A716A
	v_mul_f32_dpp v56, v24, v17 row_newbcast:3 row_mask:0xf bank_mask:0xf// 0000000076CC: 0A7022FA FF015318
	v_mov_b32_e32 v57, v56                                     // 0000000076D4: 7E720338
	v_pk_fma_f32 v[80:81], v[112:113], v[56:57], v[80:81]      // 0000000076D8: D3B04050 1D427170
	v_pk_fma_f32 v[82:83], v[114:115], v[56:57], v[82:83]      // 0000000076E0: D3B04052 1D4A7172
	v_pk_fma_f32 v[88:89], v[120:121], v[56:57], v[88:89]      // 0000000076E8: D3B04058 1D627178
	v_pk_fma_f32 v[90:91], v[122:123], v[56:57], v[90:91]      // 0000000076F0: D3B0405A 1D6A717A
	v_mul_f32_dpp v56, v24, v18 row_newbcast:2 row_mask:0xf bank_mask:0xf// 0000000076F8: 0A7024FA FF015218
	v_mov_b32_e32 v57, v56                                     // 000000007700: 7E720338
	v_pk_fma_f32 v[68:69], v[100:101], v[56:57], v[68:69]      // 000000007704: D3B04044 1D127164
	v_pk_fma_f32 v[70:71], v[102:103], v[56:57], v[70:71]      // 00000000770C: D3B04046 1D1A7166
	v_pk_fma_f32 v[76:77], v[108:109], v[56:57], v[76:77]      // 000000007714: D3B0404C 1D32716C
	v_pk_fma_f32 v[78:79], v[110:111], v[56:57], v[78:79]      // 00000000771C: D3B0404E 1D3A716E
	v_mul_f32_dpp v56, v24, v18 row_newbcast:3 row_mask:0xf bank_mask:0xf// 000000007724: 0A7024FA FF015318
	v_mov_b32_e32 v57, v56                                     // 00000000772C: 7E720338
	v_pk_fma_f32 v[84:85], v[116:117], v[56:57], v[84:85]      // 000000007730: D3B04054 1D527174
	v_pk_fma_f32 v[86:87], v[118:119], v[56:57], v[86:87]      // 000000007738: D3B04056 1D5A7176
	v_pk_fma_f32 v[92:93], v[124:125], v[56:57], v[92:93]      // 000000007740: D3B0405C 1D72717C
	v_pk_fma_f32 v[94:95], v[126:127], v[56:57], v[94:95]      // 000000007748: D3B0405E 1D7A717E
	s_add_u32 s60, 0x200, s80                                  // 000000007750: 803C50FF 00000200
	s_cmp_lt_u32 s60, s81                                      // 000000007758: BF0A513C
	s_cselect_b32 s57, s57, 0                                  // 00000000775C: 85398039
	s_cselect_b32 s3, s3, 0                                    // 000000007760: 85038003
	s_add_u32 s60, 0x200, s80                                  // 000000007764: 803C50FF 00000200
	s_cmp_lt_u32 s60, s81                                      // 00000000776C: BF0A513C
	s_cselect_b32 s58, s58, 0                                  // 000000007770: 853A803A
	s_add_u32 s20, s57, s20                                    // 000000007774: 80141439
	s_addc_u32 s21, 0, s21                                     // 000000007778: 82151580
	s_add_u32 s28, s3, s28                                     // 00000000777C: 801C1C03
	s_addc_u32 s29, 0, s29                                     // 000000007780: 821D1D80
	s_add_u32 s24, s58, s24                                    // 000000007784: 8018183A
	s_addc_u32 s25, 0, s25                                     // 000000007788: 82191980
	s_add_u32 s92, s90, s92                                    // 00000000778C: 805C5C5A
	s_addc_u32 s93, 0, s93                                     // 000000007790: 825D5D80
	s_addk_i32 s80, 0x100                                      // 000000007794: B7500100
	s_cmp_lt_i32 s80, s81                                      // 000000007798: BF045150
	s_cbranch_scc0 label_14B9                                  // 00000000779C: BF840251
	s_waitcnt vmcnt(8) lgkmcnt(0)                              // 0000000077A0: BF8C0078
	s_barrier                                                  // 0000000077A4: BF8A0000
	v_mfma_f32_16x16x32_fp8_fp8 v[160:163], a[0:1], v[224:225], 0// 0000000077A8: D3F300A0 0A03C100
	buffer_load_dwordx4 a[64:67], v44, s[92:95], 0 offen       // 0000000077B0: E05C1000 8097402C
	v_mfma_f32_16x16x32_fp8_fp8 v[160:163], a[2:3], v[226:227], v[160:163]// 0000000077B8: D3F300A0 0E83C502
	v_mfma_f32_16x16x32_fp8_fp8 v[160:163], a[4:5], v[228:229], v[160:163]// 0000000077C0: D3F300A0 0E83C904
	buffer_load_dword v36, s[20:23], 0 offen lds               // 0000000077C8: E0511000 80050024
	s_add_u32 m0, 0x100, s50                                   // 0000000077D0: 807C32FF 00000100
	v_mfma_f32_16x16x32_fp8_fp8 v[160:163], a[6:7], v[230:231], v[160:163]// 0000000077D8: D3F300A0 0E83CD06
	v_mfma_f32_16x16x32_fp8_fp8 v[164:167], a[0:1], v[240:241], 0// 0000000077E0: D3F300A4 0A03E100
	buffer_load_dwordx4 a[68:71], v44, s[92:95], 0 offen offset:1024// 0000000077E8: E05C1400 8097442C
	v_mfma_f32_16x16x32_fp8_fp8 v[164:167], a[2:3], v[242:243], v[164:167]// 0000000077F0: D3F300A4 0E93E502
	v_mfma_f32_16x16x32_fp8_fp8 v[164:167], a[4:5], v[244:245], v[164:167]// 0000000077F8: D3F300A4 0E93E904
	buffer_load_dword v37, s[20:23], 0 offen lds               // 000000007800: E0511000 80050025
	s_add_u32 m0, 0x200, s50                                   // 000000007808: 807C32FF 00000200
	v_mfma_f32_16x16x32_fp8_fp8 v[164:167], a[6:7], v[246:247], v[164:167]// 000000007810: D3F300A4 0E93ED06
	v_mfma_f32_16x16x32_fp8_fp8 v[168:171], a[16:17], v[224:225], 0// 000000007818: D3F300A8 0A03C110
	buffer_load_dwordx4 a[80:83], v45, s[92:95], 0 offen       // 000000007820: E05C1000 8097502D
	v_mfma_f32_16x16x32_fp8_fp8 v[168:171], a[18:19], v[226:227], v[168:171]// 000000007828: D3F300A8 0EA3C512
	v_mfma_f32_16x16x32_fp8_fp8 v[168:171], a[20:21], v[228:229], v[168:171]// 000000007830: D3F300A8 0EA3C914
	buffer_load_dword v38, s[20:23], 0 offen lds               // 000000007838: E0511000 80050026
	s_add_u32 m0, 0x300, s50                                   // 000000007840: 807C32FF 00000300
	v_mfma_f32_16x16x32_fp8_fp8 v[168:171], a[22:23], v[230:231], v[168:171]// 000000007848: D3F300A8 0EA3CD16
	v_mfma_f32_16x16x32_fp8_fp8 v[172:175], a[16:17], v[240:241], 0// 000000007850: D3F300AC 0A03E110
	buffer_load_dwordx4 a[84:87], v45, s[92:95], 0 offen offset:1024// 000000007858: E05C1400 8097542D
	v_mfma_f32_16x16x32_fp8_fp8 v[172:175], a[18:19], v[242:243], v[172:175]// 000000007860: D3F300AC 0EB3E512
	v_mfma_f32_16x16x32_fp8_fp8 v[172:175], a[20:21], v[244:245], v[172:175]// 000000007868: D3F300AC 0EB3E914
	buffer_load_dword v39, s[20:23], 0 offen lds               // 000000007870: E0511000 80050027
	s_add_u32 m0, 0x400, s50                                   // 000000007878: 807C32FF 00000400
	v_mfma_f32_16x16x32_fp8_fp8 v[172:175], a[22:23], v[246:247], v[172:175]// 000000007880: D3F300AC 0EB3ED16
	v_mfma_f32_16x16x32_fp8_fp8 v[176:179], a[32:33], v[224:225], 0// 000000007888: D3F300B0 0A03C120
	buffer_load_dwordx4 a[96:99], v46, s[92:95], 0 offen       // 000000007890: E05C1000 8097602E
	v_mfma_f32_16x16x32_fp8_fp8 v[176:179], a[34:35], v[226:227], v[176:179]// 000000007898: D3F300B0 0EC3C522
	v_mfma_f32_16x16x32_fp8_fp8 v[176:179], a[36:37], v[228:229], v[176:179]// 0000000078A0: D3F300B0 0EC3C924
	buffer_load_dword v40, s[20:23], 0 offen lds               // 0000000078A8: E0511000 80050028
	s_add_u32 m0, 0x500, s50                                   // 0000000078B0: 807C32FF 00000500
	v_mfma_f32_16x16x32_fp8_fp8 v[176:179], a[38:39], v[230:231], v[176:179]// 0000000078B8: D3F300B0 0EC3CD26
	v_mfma_f32_16x16x32_fp8_fp8 v[180:183], a[32:33], v[240:241], 0// 0000000078C0: D3F300B4 0A03E120
	buffer_load_dwordx4 a[100:103], v46, s[92:95], 0 offen offset:1024// 0000000078C8: E05C1400 8097642E
	v_mfma_f32_16x16x32_fp8_fp8 v[180:183], a[34:35], v[242:243], v[180:183]// 0000000078D0: D3F300B4 0ED3E522
	v_mfma_f32_16x16x32_fp8_fp8 v[180:183], a[36:37], v[244:245], v[180:183]// 0000000078D8: D3F300B4 0ED3E924
	buffer_load_dword v41, s[20:23], 0 offen lds               // 0000000078E0: E0511000 80050029
	s_add_u32 m0, 0x600, s50                                   // 0000000078E8: 807C32FF 00000600
	v_mfma_f32_16x16x32_fp8_fp8 v[180:183], a[38:39], v[246:247], v[180:183]// 0000000078F0: D3F300B4 0ED3ED26
	v_mfma_f32_16x16x32_fp8_fp8 v[184:187], a[48:49], v[224:225], 0// 0000000078F8: D3F300B8 0A03C130
	buffer_load_dwordx4 a[112:115], v47, s[92:95], 0 offen     // 000000007900: E05C1000 8097702F
	v_mfma_f32_16x16x32_fp8_fp8 v[184:187], a[50:51], v[226:227], v[184:187]// 000000007908: D3F300B8 0EE3C532
	v_mfma_f32_16x16x32_fp8_fp8 v[184:187], a[52:53], v[228:229], v[184:187]// 000000007910: D3F300B8 0EE3C934
	buffer_load_dword v42, s[20:23], 0 offen lds               // 000000007918: E0511000 8005002A
	s_add_u32 m0, 0x700, s50                                   // 000000007920: 807C32FF 00000700
	v_mfma_f32_16x16x32_fp8_fp8 v[184:187], a[54:55], v[230:231], v[184:187]// 000000007928: D3F300B8 0EE3CD36
	v_mfma_f32_16x16x32_fp8_fp8 v[188:191], a[48:49], v[240:241], 0// 000000007930: D3F300BC 0A03E130
	buffer_load_dwordx4 a[116:119], v47, s[92:95], 0 offen offset:1024// 000000007938: E05C1400 8097742F
	v_mfma_f32_16x16x32_fp8_fp8 v[188:191], a[50:51], v[242:243], v[188:191]// 000000007940: D3F300BC 0EF3E532
	v_mfma_f32_16x16x32_fp8_fp8 v[188:191], a[52:53], v[244:245], v[188:191]// 000000007948: D3F300BC 0EF3E934
	buffer_load_dword v43, s[20:23], 0 offen lds               // 000000007950: E0511000 8005002B
	s_add_u32 m0, s50, s76                                     // 000000007958: 807C4C32
	v_mfma_f32_16x16x32_fp8_fp8 v[188:191], a[54:55], v[246:247], v[188:191]// 00000000795C: D3F300BC 0EF3ED36
	buffer_load_dword v7, s[28:31], 0 offen lds                // 000000007964: E0511000 80070007
	s_add_u32 m0, 0, s51                                       // 00000000796C: 807C3380
	buffer_load_dword v24, v13, s[32:35], 0 offen              // 000000007970: E0501000 8008180D
	v_mul_f32_dpp v56, v23, v19 row_newbcast:0 row_mask:0xf bank_mask:0xf// 000000007978: 0A7026FA FF015017
	v_mov_b32_e32 v57, v56                                     // 000000007980: 7E720338
	v_pk_fma_f32 v[128:129], v[160:161], v[56:57], v[128:129]  // 000000007984: D3B04080 1E0271A0
	v_pk_fma_f32 v[130:131], v[162:163], v[56:57], v[130:131]  // 00000000798C: D3B04082 1E0A71A2
	v_pk_fma_f32 v[136:137], v[168:169], v[56:57], v[136:137]  // 000000007994: D3B04088 1E2271A8
	v_pk_fma_f32 v[138:139], v[170:171], v[56:57], v[138:139]  // 00000000799C: D3B0408A 1E2A71AA
	v_mul_f32_dpp v56, v23, v19 row_newbcast:1 row_mask:0xf bank_mask:0xf// 0000000079A4: 0A7026FA FF015117
	v_mov_b32_e32 v57, v56                                     // 0000000079AC: 7E720338
	v_pk_fma_f32 v[144:145], v[176:177], v[56:57], v[144:145]  // 0000000079B0: D3B04090 1E4271B0
	v_pk_fma_f32 v[146:147], v[178:179], v[56:57], v[146:147]  // 0000000079B8: D3B04092 1E4A71B2
	v_pk_fma_f32 v[152:153], v[184:185], v[56:57], v[152:153]  // 0000000079C0: D3B04098 1E6271B8
	v_pk_fma_f32 v[154:155], v[186:187], v[56:57], v[154:155]  // 0000000079C8: D3B0409A 1E6A71BA
	v_mul_f32_dpp v56, v23, v20 row_newbcast:0 row_mask:0xf bank_mask:0xf// 0000000079D0: 0A7028FA FF015017
	v_mov_b32_e32 v57, v56                                     // 0000000079D8: 7E720338
	v_pk_fma_f32 v[132:133], v[164:165], v[56:57], v[132:133]  // 0000000079DC: D3B04084 1E1271A4
	v_pk_fma_f32 v[134:135], v[166:167], v[56:57], v[134:135]  // 0000000079E4: D3B04086 1E1A71A6
	v_pk_fma_f32 v[140:141], v[172:173], v[56:57], v[140:141]  // 0000000079EC: D3B0408C 1E3271AC
	v_pk_fma_f32 v[142:143], v[174:175], v[56:57], v[142:143]  // 0000000079F4: D3B0408E 1E3A71AE
	v_mul_f32_dpp v56, v23, v20 row_newbcast:1 row_mask:0xf bank_mask:0xf// 0000000079FC: 0A7028FA FF015117
	v_mov_b32_e32 v57, v56                                     // 000000007A04: 7E720338
	v_pk_fma_f32 v[148:149], v[180:181], v[56:57], v[148:149]  // 000000007A08: D3B04094 1E5271B4
	v_pk_fma_f32 v[150:151], v[182:183], v[56:57], v[150:151]  // 000000007A10: D3B04096 1E5A71B6
	v_pk_fma_f32 v[156:157], v[188:189], v[56:57], v[156:157]  // 000000007A18: D3B0409C 1E7271BC
	v_pk_fma_f32 v[158:159], v[190:191], v[56:57], v[158:159]  // 000000007A20: D3B0409E 1E7A71BE
	s_waitcnt vmcnt(22)                                        // 000000007A28: BF8C4F76
	v_mfma_f32_16x16x32_fp8_fp8 v[160:163], a[8:9], v[232:233], 0// 000000007A2C: D3F300A0 0A03D108
	buffer_load_dwordx4 a[72:75], v44, s[92:95], 0 offen offset:2048// 000000007A34: E05C1800 8097482C
	v_mfma_f32_16x16x32_fp8_fp8 v[160:163], a[10:11], v[234:235], v[160:163]// 000000007A3C: D3F300A0 0E83D50A
	v_mfma_f32_16x16x32_fp8_fp8 v[160:163], a[12:13], v[236:237], v[160:163]// 000000007A44: D3F300A0 0E83D90C
	v_mfma_f32_16x16x32_fp8_fp8 v[160:163], a[14:15], v[238:239], v[160:163]// 000000007A4C: D3F300A0 0E83DD0E
	v_mfma_f32_16x16x32_fp8_fp8 v[164:167], a[8:9], v[248:249], 0// 000000007A54: D3F300A4 0A03F108
	buffer_load_dwordx4 a[76:79], v44, s[92:95], 0 offen offset:3072// 000000007A5C: E05C1C00 80974C2C
	v_mfma_f32_16x16x32_fp8_fp8 v[164:167], a[10:11], v[250:251], v[164:167]// 000000007A64: D3F300A4 0E93F50A
	v_mfma_f32_16x16x32_fp8_fp8 v[164:167], a[12:13], v[252:253], v[164:167]// 000000007A6C: D3F300A4 0E93F90C
	v_mfma_f32_16x16x32_fp8_fp8 v[164:167], a[14:15], v[254:255], v[164:167]// 000000007A74: D3F300A4 0E93FD0E
	v_mfma_f32_16x16x32_fp8_fp8 v[168:171], a[24:25], v[232:233], 0// 000000007A7C: D3F300A8 0A03D118
	buffer_load_dwordx4 a[88:91], v45, s[92:95], 0 offen offset:2048// 000000007A84: E05C1800 8097582D
	v_mfma_f32_16x16x32_fp8_fp8 v[168:171], a[26:27], v[234:235], v[168:171]// 000000007A8C: D3F300A8 0EA3D51A
	v_mfma_f32_16x16x32_fp8_fp8 v[168:171], a[28:29], v[236:237], v[168:171]// 000000007A94: D3F300A8 0EA3D91C
	v_mfma_f32_16x16x32_fp8_fp8 v[168:171], a[30:31], v[238:239], v[168:171]// 000000007A9C: D3F300A8 0EA3DD1E
	v_mfma_f32_16x16x32_fp8_fp8 v[172:175], a[24:25], v[248:249], 0// 000000007AA4: D3F300AC 0A03F118
	buffer_load_dwordx4 a[92:95], v45, s[92:95], 0 offen offset:3072// 000000007AAC: E05C1C00 80975C2D
	v_mfma_f32_16x16x32_fp8_fp8 v[172:175], a[26:27], v[250:251], v[172:175]// 000000007AB4: D3F300AC 0EB3F51A
	v_mfma_f32_16x16x32_fp8_fp8 v[172:175], a[28:29], v[252:253], v[172:175]// 000000007ABC: D3F300AC 0EB3F91C
	v_mfma_f32_16x16x32_fp8_fp8 v[172:175], a[30:31], v[254:255], v[172:175]// 000000007AC4: D3F300AC 0EB3FD1E
	s_waitcnt vmcnt(22)                                        // 000000007ACC: BF8C4F76
	v_mfma_f32_16x16x32_fp8_fp8 v[176:179], a[40:41], v[232:233], 0// 000000007AD0: D3F300B0 0A03D128
	buffer_load_dwordx4 a[104:107], v46, s[92:95], 0 offen offset:2048// 000000007AD8: E05C1800 8097682E
	v_mfma_f32_16x16x32_fp8_fp8 v[176:179], a[42:43], v[234:235], v[176:179]// 000000007AE0: D3F300B0 0EC3D52A
	v_mfma_f32_16x16x32_fp8_fp8 v[176:179], a[44:45], v[236:237], v[176:179]// 000000007AE8: D3F300B0 0EC3D92C
	v_mfma_f32_16x16x32_fp8_fp8 v[176:179], a[46:47], v[238:239], v[176:179]// 000000007AF0: D3F300B0 0EC3DD2E
	v_mfma_f32_16x16x32_fp8_fp8 v[180:183], a[40:41], v[248:249], 0// 000000007AF8: D3F300B4 0A03F128
	buffer_load_dwordx4 a[108:111], v46, s[92:95], 0 offen offset:3072// 000000007B00: E05C1C00 80976C2E
	v_mfma_f32_16x16x32_fp8_fp8 v[180:183], a[42:43], v[250:251], v[180:183]// 000000007B08: D3F300B4 0ED3F52A
	v_mfma_f32_16x16x32_fp8_fp8 v[180:183], a[44:45], v[252:253], v[180:183]// 000000007B10: D3F300B4 0ED3F92C
	v_mfma_f32_16x16x32_fp8_fp8 v[180:183], a[46:47], v[254:255], v[180:183]// 000000007B18: D3F300B4 0ED3FD2E
	v_mfma_f32_16x16x32_fp8_fp8 v[184:187], a[56:57], v[232:233], 0// 000000007B20: D3F300B8 0A03D138
	buffer_load_dwordx4 a[120:123], v47, s[92:95], 0 offen offset:2048// 000000007B28: E05C1800 8097782F
	v_mfma_f32_16x16x32_fp8_fp8 v[184:187], a[58:59], v[234:235], v[184:187]// 000000007B30: D3F300B8 0EE3D53A
	v_mfma_f32_16x16x32_fp8_fp8 v[184:187], a[60:61], v[236:237], v[184:187]// 000000007B38: D3F300B8 0EE3D93C
	v_mfma_f32_16x16x32_fp8_fp8 v[184:187], a[62:63], v[238:239], v[184:187]// 000000007B40: D3F300B8 0EE3DD3E
	v_mfma_f32_16x16x32_fp8_fp8 v[188:191], a[56:57], v[248:249], 0// 000000007B48: D3F300BC 0A03F138
	buffer_load_dwordx4 a[124:127], v47, s[92:95], 0 offen offset:3072// 000000007B50: E05C1C00 80977C2F
	v_mfma_f32_16x16x32_fp8_fp8 v[188:191], a[58:59], v[250:251], v[188:191]// 000000007B58: D3F300BC 0EF3F53A
	v_mfma_f32_16x16x32_fp8_fp8 v[188:191], a[60:61], v[252:253], v[188:191]// 000000007B60: D3F300BC 0EF3F93C
	v_mfma_f32_16x16x32_fp8_fp8 v[188:191], a[62:63], v[254:255], v[188:191]// 000000007B68: D3F300BC 0EF3FD3E
	v_mul_f32_dpp v56, v23, v21 row_newbcast:2 row_mask:0xf bank_mask:0xf// 000000007B70: 0A702AFA FF015217
	v_mov_b32_e32 v57, v56                                     // 000000007B78: 7E720338
	v_pk_fma_f32 v[128:129], v[160:161], v[56:57], v[128:129]  // 000000007B7C: D3B04080 1E0271A0
	v_pk_fma_f32 v[130:131], v[162:163], v[56:57], v[130:131]  // 000000007B84: D3B04082 1E0A71A2
	v_pk_fma_f32 v[136:137], v[168:169], v[56:57], v[136:137]  // 000000007B8C: D3B04088 1E2271A8
	v_pk_fma_f32 v[138:139], v[170:171], v[56:57], v[138:139]  // 000000007B94: D3B0408A 1E2A71AA
	v_mul_f32_dpp v56, v23, v21 row_newbcast:3 row_mask:0xf bank_mask:0xf// 000000007B9C: 0A702AFA FF015317
	v_mov_b32_e32 v57, v56                                     // 000000007BA4: 7E720338
	v_pk_fma_f32 v[144:145], v[176:177], v[56:57], v[144:145]  // 000000007BA8: D3B04090 1E4271B0
	v_pk_fma_f32 v[146:147], v[178:179], v[56:57], v[146:147]  // 000000007BB0: D3B04092 1E4A71B2
	v_pk_fma_f32 v[152:153], v[184:185], v[56:57], v[152:153]  // 000000007BB8: D3B04098 1E6271B8
	v_pk_fma_f32 v[154:155], v[186:187], v[56:57], v[154:155]  // 000000007BC0: D3B0409A 1E6A71BA
	v_mul_f32_dpp v56, v23, v22 row_newbcast:2 row_mask:0xf bank_mask:0xf// 000000007BC8: 0A702CFA FF015217
	v_mov_b32_e32 v57, v56                                     // 000000007BD0: 7E720338
	v_pk_fma_f32 v[132:133], v[164:165], v[56:57], v[132:133]  // 000000007BD4: D3B04084 1E1271A4
	v_pk_fma_f32 v[134:135], v[166:167], v[56:57], v[134:135]  // 000000007BDC: D3B04086 1E1A71A6
	v_pk_fma_f32 v[140:141], v[172:173], v[56:57], v[140:141]  // 000000007BE4: D3B0408C 1E3271AC
	v_pk_fma_f32 v[142:143], v[174:175], v[56:57], v[142:143]  // 000000007BEC: D3B0408E 1E3A71AE
	v_mul_f32_dpp v56, v23, v22 row_newbcast:3 row_mask:0xf bank_mask:0xf// 000000007BF4: 0A702CFA FF015317
	v_mov_b32_e32 v57, v56                                     // 000000007BFC: 7E720338
	v_pk_fma_f32 v[148:149], v[180:181], v[56:57], v[148:149]  // 000000007C00: D3B04094 1E5271B4
	v_pk_fma_f32 v[150:151], v[182:183], v[56:57], v[150:151]  // 000000007C08: D3B04096 1E5A71B6
	v_pk_fma_f32 v[156:157], v[188:189], v[56:57], v[156:157]  // 000000007C10: D3B0409C 1E7271BC
	v_pk_fma_f32 v[158:159], v[190:191], v[56:57], v[158:159]  // 000000007C18: D3B0409E 1E7A71BE
	s_add_u32 s60, 0x100, s80                                  // 000000007C20: 803C50FF 00000100
	s_cmp_lt_u32 s60, s81                                      // 000000007C28: BF0A513C
	s_cselect_b32 s4, s4, 0                                    // 000000007C2C: 85048004
	s_add_u32 s32, s4, s32                                     // 000000007C30: 80202004
	s_addc_u32 s33, 0, s33                                     // 000000007C34: 82212180
	s_waitcnt vmcnt(8)                                         // 000000007C38: BF8C0F78
	s_barrier                                                  // 000000007C3C: BF8A0000
	v_mfma_f32_16x16x32_fp8_fp8 v[96:99], a[64:65], v[224:225], 0// 000000007C40: D3F30060 0A03C140
	buffer_load_dwordx4 a[0:3], v44, s[24:27], 0 offen         // 000000007C48: E05C1000 8086002C
	v_mfma_f32_16x16x32_fp8_fp8 v[96:99], a[66:67], v[226:227], v[96:99]// 000000007C50: D3F30060 0D83C542
	v_mfma_f32_16x16x32_fp8_fp8 v[96:99], a[68:69], v[228:229], v[96:99]// 000000007C58: D3F30060 0D83C944
	buffer_load_dword v23, v11, s[32:35], 0 offen              // 000000007C60: E0501000 8008170B
	v_mfma_f32_16x16x32_fp8_fp8 v[96:99], a[70:71], v[230:231], v[96:99]// 000000007C68: D3F30060 0D83CD46
	v_mfma_f32_16x16x32_fp8_fp8 v[100:103], a[64:65], v[240:241], 0// 000000007C70: D3F30064 0A03E140
	buffer_load_dwordx4 a[4:7], v44, s[24:27], 0 offen offset:1024// 000000007C78: E05C1400 8086042C
	v_mfma_f32_16x16x32_fp8_fp8 v[100:103], a[66:67], v[242:243], v[100:103]// 000000007C80: D3F30064 0D93E542
	v_mfma_f32_16x16x32_fp8_fp8 v[100:103], a[68:69], v[244:245], v[100:103]// 000000007C88: D3F30064 0D93E944
	v_mfma_f32_16x16x32_fp8_fp8 v[100:103], a[70:71], v[246:247], v[100:103]// 000000007C90: D3F30064 0D93ED46
	v_mfma_f32_16x16x32_fp8_fp8 v[104:107], a[80:81], v[224:225], 0// 000000007C98: D3F30068 0A03C150
	buffer_load_dwordx4 a[16:19], v45, s[24:27], 0 offen       // 000000007CA0: E05C1000 8086102D
	v_mfma_f32_16x16x32_fp8_fp8 v[104:107], a[82:83], v[226:227], v[104:107]// 000000007CA8: D3F30068 0DA3C552
	v_mfma_f32_16x16x32_fp8_fp8 v[104:107], a[84:85], v[228:229], v[104:107]// 000000007CB0: D3F30068 0DA3C954
	v_mfma_f32_16x16x32_fp8_fp8 v[104:107], a[86:87], v[230:231], v[104:107]// 000000007CB8: D3F30068 0DA3CD56
	v_mfma_f32_16x16x32_fp8_fp8 v[108:111], a[80:81], v[240:241], 0// 000000007CC0: D3F3006C 0A03E150
	buffer_load_dwordx4 a[20:23], v45, s[24:27], 0 offen offset:1024// 000000007CC8: E05C1400 8086142D
	v_mfma_f32_16x16x32_fp8_fp8 v[108:111], a[82:83], v[242:243], v[108:111]// 000000007CD0: D3F3006C 0DB3E552
	v_mfma_f32_16x16x32_fp8_fp8 v[108:111], a[84:85], v[244:245], v[108:111]// 000000007CD8: D3F3006C 0DB3E954
	v_mfma_f32_16x16x32_fp8_fp8 v[108:111], a[86:87], v[246:247], v[108:111]// 000000007CE0: D3F3006C 0DB3ED56
	v_mfma_f32_16x16x32_fp8_fp8 v[112:115], a[96:97], v[224:225], 0// 000000007CE8: D3F30070 0A03C160
	buffer_load_dwordx4 a[32:35], v46, s[24:27], 0 offen       // 000000007CF0: E05C1000 8086202E
	v_mfma_f32_16x16x32_fp8_fp8 v[112:115], a[98:99], v[226:227], v[112:115]// 000000007CF8: D3F30070 0DC3C562
	v_mfma_f32_16x16x32_fp8_fp8 v[112:115], a[100:101], v[228:229], v[112:115]// 000000007D00: D3F30070 0DC3C964
	v_mfma_f32_16x16x32_fp8_fp8 v[112:115], a[102:103], v[230:231], v[112:115]// 000000007D08: D3F30070 0DC3CD66
	v_mfma_f32_16x16x32_fp8_fp8 v[116:119], a[96:97], v[240:241], 0// 000000007D10: D3F30074 0A03E160
	buffer_load_dwordx4 a[36:39], v46, s[24:27], 0 offen offset:1024// 000000007D18: E05C1400 8086242E
	v_mfma_f32_16x16x32_fp8_fp8 v[116:119], a[98:99], v[242:243], v[116:119]// 000000007D20: D3F30074 0DD3E562
	v_mfma_f32_16x16x32_fp8_fp8 v[116:119], a[100:101], v[244:245], v[116:119]// 000000007D28: D3F30074 0DD3E964
	v_mfma_f32_16x16x32_fp8_fp8 v[116:119], a[102:103], v[246:247], v[116:119]// 000000007D30: D3F30074 0DD3ED66
	v_mfma_f32_16x16x32_fp8_fp8 v[120:123], a[112:113], v[224:225], 0// 000000007D38: D3F30078 0A03C170
	buffer_load_dwordx4 a[48:51], v47, s[24:27], 0 offen       // 000000007D40: E05C1000 8086302F
	v_mfma_f32_16x16x32_fp8_fp8 v[120:123], a[114:115], v[226:227], v[120:123]// 000000007D48: D3F30078 0DE3C572
	v_mfma_f32_16x16x32_fp8_fp8 v[120:123], a[116:117], v[228:229], v[120:123]// 000000007D50: D3F30078 0DE3C974
	v_mfma_f32_16x16x32_fp8_fp8 v[120:123], a[118:119], v[230:231], v[120:123]// 000000007D58: D3F30078 0DE3CD76
	v_mfma_f32_16x16x32_fp8_fp8 v[124:127], a[112:113], v[240:241], 0// 000000007D60: D3F3007C 0A03E170
	buffer_load_dwordx4 a[52:55], v47, s[24:27], 0 offen offset:1024// 000000007D68: E05C1400 8086342F
	v_mfma_f32_16x16x32_fp8_fp8 v[124:127], a[114:115], v[242:243], v[124:127]// 000000007D70: D3F3007C 0DF3E572
	v_mfma_f32_16x16x32_fp8_fp8 v[124:127], a[116:117], v[244:245], v[124:127]// 000000007D78: D3F3007C 0DF3E974
	v_mfma_f32_16x16x32_fp8_fp8 v[124:127], a[118:119], v[246:247], v[124:127]// 000000007D80: D3F3007C 0DF3ED76
	v_mul_f32_dpp v56, v24, v19 row_newbcast:0 row_mask:0xf bank_mask:0xf// 000000007D88: 0A7026FA FF015018
	v_mov_b32_e32 v57, v56                                     // 000000007D90: 7E720338
	v_pk_fma_f32 v[64:65], v[96:97], v[56:57], v[64:65]        // 000000007D94: D3B04040 1D027160
	v_pk_fma_f32 v[66:67], v[98:99], v[56:57], v[66:67]        // 000000007D9C: D3B04042 1D0A7162
	v_pk_fma_f32 v[72:73], v[104:105], v[56:57], v[72:73]      // 000000007DA4: D3B04048 1D227168
	v_pk_fma_f32 v[74:75], v[106:107], v[56:57], v[74:75]      // 000000007DAC: D3B0404A 1D2A716A
	v_mul_f32_dpp v56, v24, v19 row_newbcast:1 row_mask:0xf bank_mask:0xf// 000000007DB4: 0A7026FA FF015118
	v_mov_b32_e32 v57, v56                                     // 000000007DBC: 7E720338
	v_pk_fma_f32 v[80:81], v[112:113], v[56:57], v[80:81]      // 000000007DC0: D3B04050 1D427170
	v_pk_fma_f32 v[82:83], v[114:115], v[56:57], v[82:83]      // 000000007DC8: D3B04052 1D4A7172
	v_pk_fma_f32 v[88:89], v[120:121], v[56:57], v[88:89]      // 000000007DD0: D3B04058 1D627178
	v_pk_fma_f32 v[90:91], v[122:123], v[56:57], v[90:91]      // 000000007DD8: D3B0405A 1D6A717A
	v_mul_f32_dpp v56, v24, v20 row_newbcast:0 row_mask:0xf bank_mask:0xf// 000000007DE0: 0A7028FA FF015018
	v_mov_b32_e32 v57, v56                                     // 000000007DE8: 7E720338
	v_pk_fma_f32 v[68:69], v[100:101], v[56:57], v[68:69]      // 000000007DEC: D3B04044 1D127164
	v_pk_fma_f32 v[70:71], v[102:103], v[56:57], v[70:71]      // 000000007DF4: D3B04046 1D1A7166
	v_pk_fma_f32 v[76:77], v[108:109], v[56:57], v[76:77]      // 000000007DFC: D3B0404C 1D32716C
	v_pk_fma_f32 v[78:79], v[110:111], v[56:57], v[78:79]      // 000000007E04: D3B0404E 1D3A716E
	v_mul_f32_dpp v56, v24, v20 row_newbcast:1 row_mask:0xf bank_mask:0xf// 000000007E0C: 0A7028FA FF015118
	v_mov_b32_e32 v57, v56                                     // 000000007E14: 7E720338
	v_pk_fma_f32 v[84:85], v[116:117], v[56:57], v[84:85]      // 000000007E18: D3B04054 1D527174
	v_pk_fma_f32 v[86:87], v[118:119], v[56:57], v[86:87]      // 000000007E20: D3B04056 1D5A7176
	v_pk_fma_f32 v[92:93], v[124:125], v[56:57], v[92:93]      // 000000007E28: D3B0405C 1D72717C
	v_pk_fma_f32 v[94:95], v[126:127], v[56:57], v[94:95]      // 000000007E30: D3B0405E 1D7A717E
	s_waitcnt vmcnt(13)                                        // 000000007E38: BF8C0F7D
	v_mfma_f32_16x16x32_fp8_fp8 v[96:99], a[72:73], v[232:233], 0// 000000007E3C: D3F30060 0A03D148
	buffer_load_dwordx4 a[8:11], v44, s[24:27], 0 offen offset:2048// 000000007E44: E05C1800 8086082C
	v_mfma_f32_16x16x32_fp8_fp8 v[96:99], a[74:75], v[234:235], v[96:99]// 000000007E4C: D3F30060 0D83D54A
	v_mfma_f32_16x16x32_fp8_fp8 v[96:99], a[76:77], v[236:237], v[96:99]// 000000007E54: D3F30060 0D83D94C
	ds_read_b128 v[192:195], v2                                // 000000007E5C: D9FE0000 C0000002
	ds_read_b32 v15, v3 offset:8320                            // 000000007E64: D86C2080 0F000003
	v_mfma_f32_16x16x32_fp8_fp8 v[96:99], a[78:79], v[238:239], v[96:99]// 000000007E6C: D3F30060 0D83DD4E
	v_mfma_f32_16x16x32_fp8_fp8 v[100:103], a[72:73], v[248:249], 0// 000000007E74: D3F30064 0A03F148
	buffer_load_dwordx4 a[12:15], v44, s[24:27], 0 offen offset:3072// 000000007E7C: E05C1C00 80860C2C
	v_mfma_f32_16x16x32_fp8_fp8 v[100:103], a[74:75], v[250:251], v[100:103]// 000000007E84: D3F30064 0D93F54A
	v_mfma_f32_16x16x32_fp8_fp8 v[100:103], a[76:77], v[252:253], v[100:103]// 000000007E8C: D3F30064 0D93F94C
	ds_read_b128 v[196:199], v2 offset:64                      // 000000007E94: D9FE0040 C4000002
	ds_read_b32 v16, v3 offset:8576                            // 000000007E9C: D86C2180 10000003
	v_mfma_f32_16x16x32_fp8_fp8 v[100:103], a[78:79], v[254:255], v[100:103]// 000000007EA4: D3F30064 0D93FD4E
	v_mfma_f32_16x16x32_fp8_fp8 v[104:107], a[88:89], v[232:233], 0// 000000007EAC: D3F30068 0A03D158
	buffer_load_dwordx4 a[24:27], v45, s[24:27], 0 offen offset:2048// 000000007EB4: E05C1800 8086182D
	v_mfma_f32_16x16x32_fp8_fp8 v[104:107], a[90:91], v[234:235], v[104:107]// 000000007EBC: D3F30068 0DA3D55A
	v_mfma_f32_16x16x32_fp8_fp8 v[104:107], a[92:93], v[236:237], v[104:107]// 000000007EC4: D3F30068 0DA3D95C
	ds_read_b128 v[200:203], v2 offset:128                     // 000000007ECC: D9FE0080 C8000002
	ds_read_b32 v17, v3 offset:8832                            // 000000007ED4: D86C2280 11000003
	v_mfma_f32_16x16x32_fp8_fp8 v[104:107], a[94:95], v[238:239], v[104:107]// 000000007EDC: D3F30068 0DA3DD5E
	v_mfma_f32_16x16x32_fp8_fp8 v[108:111], a[88:89], v[248:249], 0// 000000007EE4: D3F3006C 0A03F158
	buffer_load_dwordx4 a[28:31], v45, s[24:27], 0 offen offset:3072// 000000007EEC: E05C1C00 80861C2D
	v_mfma_f32_16x16x32_fp8_fp8 v[108:111], a[90:91], v[250:251], v[108:111]// 000000007EF4: D3F3006C 0DB3F55A
	v_mfma_f32_16x16x32_fp8_fp8 v[108:111], a[92:93], v[252:253], v[108:111]// 000000007EFC: D3F3006C 0DB3F95C
	ds_read_b128 v[204:207], v2 offset:192                     // 000000007F04: D9FE00C0 CC000002
	ds_read_b32 v18, v3 offset:9088                            // 000000007F0C: D86C2380 12000003
	v_mfma_f32_16x16x32_fp8_fp8 v[108:111], a[94:95], v[254:255], v[108:111]// 000000007F14: D3F3006C 0DB3FD5E
	s_waitcnt vmcnt(13)                                        // 000000007F1C: BF8C0F7D
	v_mfma_f32_16x16x32_fp8_fp8 v[112:115], a[104:105], v[232:233], 0// 000000007F20: D3F30070 0A03D168
	buffer_load_dwordx4 a[40:43], v46, s[24:27], 0 offen offset:2048// 000000007F28: E05C1800 8086282E
	v_mfma_f32_16x16x32_fp8_fp8 v[112:115], a[106:107], v[234:235], v[112:115]// 000000007F30: D3F30070 0DC3D56A
	v_mfma_f32_16x16x32_fp8_fp8 v[112:115], a[108:109], v[236:237], v[112:115]// 000000007F38: D3F30070 0DC3D96C
	ds_read_b128 v[208:211], v2 offset:1024                    // 000000007F40: D9FE0400 D0000002
	v_mfma_f32_16x16x32_fp8_fp8 v[112:115], a[110:111], v[238:239], v[112:115]// 000000007F48: D3F30070 0DC3DD6E
	v_mfma_f32_16x16x32_fp8_fp8 v[116:119], a[104:105], v[248:249], 0// 000000007F50: D3F30074 0A03F168
	buffer_load_dwordx4 a[44:47], v46, s[24:27], 0 offen offset:3072// 000000007F58: E05C1C00 80862C2E
	v_mfma_f32_16x16x32_fp8_fp8 v[116:119], a[106:107], v[250:251], v[116:119]// 000000007F60: D3F30074 0DD3F56A
	v_mfma_f32_16x16x32_fp8_fp8 v[116:119], a[108:109], v[252:253], v[116:119]// 000000007F68: D3F30074 0DD3F96C
	ds_read_b128 v[212:215], v2 offset:1088                    // 000000007F70: D9FE0440 D4000002
	v_mfma_f32_16x16x32_fp8_fp8 v[116:119], a[110:111], v[254:255], v[116:119]// 000000007F78: D3F30074 0DD3FD6E
	v_mfma_f32_16x16x32_fp8_fp8 v[120:123], a[120:121], v[232:233], 0// 000000007F80: D3F30078 0A03D178
	buffer_load_dwordx4 a[56:59], v47, s[24:27], 0 offen offset:2048// 000000007F88: E05C1800 8086382F
	v_mfma_f32_16x16x32_fp8_fp8 v[120:123], a[122:123], v[234:235], v[120:123]// 000000007F90: D3F30078 0DE3D57A
	v_mfma_f32_16x16x32_fp8_fp8 v[120:123], a[124:125], v[236:237], v[120:123]// 000000007F98: D3F30078 0DE3D97C
	ds_read_b128 v[216:219], v2 offset:1152                    // 000000007FA0: D9FE0480 D8000002
	v_mfma_f32_16x16x32_fp8_fp8 v[120:123], a[126:127], v[238:239], v[120:123]// 000000007FA8: D3F30078 0DE3DD7E
	v_mfma_f32_16x16x32_fp8_fp8 v[124:127], a[120:121], v[248:249], 0// 000000007FB0: D3F3007C 0A03F178
	buffer_load_dwordx4 a[60:63], v47, s[24:27], 0 offen offset:3072// 000000007FB8: E05C1C00 80863C2F
	v_mfma_f32_16x16x32_fp8_fp8 v[124:127], a[122:123], v[250:251], v[124:127]// 000000007FC0: D3F3007C 0DF3F57A
	v_mfma_f32_16x16x32_fp8_fp8 v[124:127], a[124:125], v[252:253], v[124:127]// 000000007FC8: D3F3007C 0DF3F97C
	ds_read_b128 v[220:223], v2 offset:1216                    // 000000007FD0: D9FE04C0 DC000002
	v_mfma_f32_16x16x32_fp8_fp8 v[124:127], a[126:127], v[254:255], v[124:127]// 000000007FD8: D3F3007C 0DF3FD7E
	v_mul_f32_dpp v56, v24, v21 row_newbcast:2 row_mask:0xf bank_mask:0xf// 000000007FE0: 0A702AFA FF015218
	v_mov_b32_e32 v57, v56                                     // 000000007FE8: 7E720338
	v_pk_fma_f32 v[64:65], v[96:97], v[56:57], v[64:65]        // 000000007FEC: D3B04040 1D027160
	v_pk_fma_f32 v[66:67], v[98:99], v[56:57], v[66:67]        // 000000007FF4: D3B04042 1D0A7162
	v_pk_fma_f32 v[72:73], v[104:105], v[56:57], v[72:73]      // 000000007FFC: D3B04048 1D227168
	v_pk_fma_f32 v[74:75], v[106:107], v[56:57], v[74:75]      // 000000008004: D3B0404A 1D2A716A
	v_mul_f32_dpp v56, v24, v21 row_newbcast:3 row_mask:0xf bank_mask:0xf// 00000000800C: 0A702AFA FF015318
	v_mov_b32_e32 v57, v56                                     // 000000008014: 7E720338
	v_pk_fma_f32 v[80:81], v[112:113], v[56:57], v[80:81]      // 000000008018: D3B04050 1D427170
	v_pk_fma_f32 v[82:83], v[114:115], v[56:57], v[82:83]      // 000000008020: D3B04052 1D4A7172
	v_pk_fma_f32 v[88:89], v[120:121], v[56:57], v[88:89]      // 000000008028: D3B04058 1D627178
	v_pk_fma_f32 v[90:91], v[122:123], v[56:57], v[90:91]      // 000000008030: D3B0405A 1D6A717A
	v_mul_f32_dpp v56, v24, v22 row_newbcast:2 row_mask:0xf bank_mask:0xf// 000000008038: 0A702CFA FF015218
	v_mov_b32_e32 v57, v56                                     // 000000008040: 7E720338
	v_pk_fma_f32 v[68:69], v[100:101], v[56:57], v[68:69]      // 000000008044: D3B04044 1D127164
	v_pk_fma_f32 v[70:71], v[102:103], v[56:57], v[70:71]      // 00000000804C: D3B04046 1D1A7166
	v_pk_fma_f32 v[76:77], v[108:109], v[56:57], v[76:77]      // 000000008054: D3B0404C 1D32716C
	v_pk_fma_f32 v[78:79], v[110:111], v[56:57], v[78:79]      // 00000000805C: D3B0404E 1D3A716E
	v_mul_f32_dpp v56, v24, v22 row_newbcast:3 row_mask:0xf bank_mask:0xf// 000000008064: 0A702CFA FF015318
	v_mov_b32_e32 v57, v56                                     // 00000000806C: 7E720338
	v_pk_fma_f32 v[84:85], v[116:117], v[56:57], v[84:85]      // 000000008070: D3B04054 1D527174
	v_pk_fma_f32 v[86:87], v[118:119], v[56:57], v[86:87]      // 000000008078: D3B04056 1D5A7176
	v_pk_fma_f32 v[92:93], v[124:125], v[56:57], v[92:93]      // 000000008080: D3B0405C 1D72717C
	v_pk_fma_f32 v[94:95], v[126:127], v[56:57], v[94:95]      // 000000008088: D3B0405E 1D7A717E
	s_add_u32 s60, 0x200, s80                                  // 000000008090: 803C50FF 00000200
	s_cmp_lt_u32 s60, s81                                      // 000000008098: BF0A513C
	s_cselect_b32 s57, s57, 0                                  // 00000000809C: 85398039
	s_cselect_b32 s3, s3, 0                                    // 0000000080A0: 85038003
	s_add_u32 s60, 0x200, s80                                  // 0000000080A4: 803C50FF 00000200
	s_cmp_lt_u32 s60, s81                                      // 0000000080AC: BF0A513C
	s_cselect_b32 s58, s58, 0                                  // 0000000080B0: 853A803A
	s_add_u32 s20, s57, s20                                    // 0000000080B4: 80141439
	s_addc_u32 s21, 0, s21                                     // 0000000080B8: 82151580
	s_add_u32 s28, s3, s28                                     // 0000000080BC: 801C1C03
	s_addc_u32 s29, 0, s29                                     // 0000000080C0: 821D1D80
	s_add_u32 s24, s58, s24                                    // 0000000080C4: 8018183A
	s_addc_u32 s25, 0, s25                                     // 0000000080C8: 82191980
	s_add_u32 s92, s90, s92                                    // 0000000080CC: 805C5C5A
	s_addc_u32 s93, 0, s93                                     // 0000000080D0: 825D5D80
	s_addk_i32 s80, 0x100                                      // 0000000080D4: B7500100
	s_cmp_lt_i32 s80, s81                                      // 0000000080D8: BF045150
	s_cbranch_scc0 label_14B9                                  // 0000000080DC: BF840001
	s_branch label_1018                                        // 0000000080E0: BF82FB5F

00000000000080e4 <label_14B9>:
	s_mov_b32 s36, -1                                          // 0000000080E4: BEA400C1
	s_mov_b32 s37, -1                                          // 0000000080E8: BEA500C1
	s_mov_b64 s[60:61], 0                                      // 0000000080EC: BEBC0180
	s_cmp_lt_u32 s82, s66                                      // 0000000080F0: BF0A4252
	s_cselect_b64 s[20:21], s[36:37], s[60:61]                 // 0000000080F4: 85943C24
	s_cmp_lt_u32 s83, s66                                      // 0000000080F8: BF0A4253
	s_cselect_b64 s[22:23], s[36:37], s[60:61]                 // 0000000080FC: 85963C24
	s_cmp_lt_u32 s84, s66                                      // 000000008100: BF0A4254
	s_cselect_b64 s[24:25], s[36:37], s[60:61]                 // 000000008104: 85983C24
	s_cmp_lt_u32 s85, s66                                      // 000000008108: BF0A4255
	s_cselect_b64 s[26:27], s[36:37], s[60:61]                 // 00000000810C: 859A3C24
	s_cmp_lt_u32 s86, s66                                      // 000000008110: BF0A4256
	s_cselect_b64 s[28:29], s[36:37], s[60:61]                 // 000000008114: 859C3C24
	s_cmp_lt_u32 s87, s66                                      // 000000008118: BF0A4257
	s_cselect_b64 s[30:31], s[36:37], s[60:61]                 // 00000000811C: 859E3C24
	s_cmp_lt_u32 s88, s66                                      // 000000008120: BF0A4258
	s_cselect_b64 s[32:33], s[36:37], s[60:61]                 // 000000008124: 85A03C24
	s_cmp_lt_u32 s89, s66                                      // 000000008128: BF0A4259
	s_cselect_b64 s[34:35], s[36:37], s[60:61]                 // 00000000812C: 85A23C24
	s_waitcnt vmcnt(12)                                        // 000000008130: BF8C0F7C
	buffer_load_dwordx4 a[0:3], v48, s[12:15], 0 offen         // 000000008134: E05C1000 80830030
	v_mul_f32_e32 v56, v128, v128                              // 00000000813C: 0A710180
	v_mul_f32_e32 v57, v129, v129                              // 000000008140: 0A730381
	v_mul_f32_e32 v58, v130, v130                              // 000000008144: 0A750582
	v_mul_f32_e32 v59, v131, v131                              // 000000008148: 0A770783
	v_fma_f32 v56, v56, s77, v1                                // 00000000814C: D1CB0038 04049B38
	v_fma_f32 v57, v57, s77, v1                                // 000000008154: D1CB0039 04049B39
	v_fma_f32 v58, v58, s77, v1                                // 00000000815C: D1CB003A 04049B3A
	v_fma_f32 v59, v59, s77, v1                                // 000000008164: D1CB003B 04049B3B
	v_mul_f32_e32 v56, v56, v128                               // 00000000816C: 0A710138
	v_mul_f32_e32 v57, v57, v129                               // 000000008170: 0A730339
	v_mul_f32_e32 v58, v58, v130                               // 000000008174: 0A75053A
	v_mul_f32_e32 v59, v59, v131                               // 000000008178: 0A77073B
	v_mul_f32_e64 v56, v56, s6                                 // 00000000817C: D1050038 00000D38
	v_mul_f32_e64 v57, v57, s6                                 // 000000008184: D1050039 00000D39
	v_mul_f32_e64 v58, v58, s6                                 // 00000000818C: D105003A 00000D3A
	v_mul_f32_e64 v59, v59, s6                                 // 000000008194: D105003B 00000D3B
	v_exp_f32_e32 v56, v56                                     // 00000000819C: 7E704138
	v_exp_f32_e32 v57, v57                                     // 0000000081A0: 7E724139
	v_exp_f32_e32 v58, v58                                     // 0000000081A4: 7E74413A
	v_exp_f32_e32 v59, v59                                     // 0000000081A8: 7E76413B
	buffer_load_dwordx4 a[4:7], v49, s[12:15], 0 offen         // 0000000081AC: E05C1000 80830431
	v_add_f32_e64 v56, v56, 1.0                                // 0000000081B4: D1010038 0001E538
	v_add_f32_e64 v57, v57, 1.0                                // 0000000081BC: D1010039 0001E539
	v_add_f32_e64 v58, v58, 1.0                                // 0000000081C4: D101003A 0001E53A
	v_add_f32_e64 v59, v59, 1.0                                // 0000000081CC: D101003B 0001E53B
	v_rcp_f32_e32 v56, v56                                     // 0000000081D4: 7E704538
	v_rcp_f32_e32 v57, v57                                     // 0000000081D8: 7E724539
	v_rcp_f32_e32 v58, v58                                     // 0000000081DC: 7E74453A
	v_rcp_f32_e32 v59, v59                                     // 0000000081E0: 7E76453B
	v_mul_f32_e32 v128, v128, v56                              // 0000000081E4: 0B007180
	v_mul_f32_e32 v129, v129, v57                              // 0000000081E8: 0B027381
	v_mul_f32_e32 v130, v130, v58                              // 0000000081EC: 0B047582
	v_mul_f32_e32 v131, v131, v59                              // 0000000081F0: 0B067783
	v_mul_f32_e32 v128, v128, v64                              // 0000000081F4: 0B008180
	v_mul_f32_e32 v129, v129, v65                              // 0000000081F8: 0B028381
	v_mul_f32_e32 v130, v130, v66                              // 0000000081FC: 0B048582
	v_mul_f32_e32 v131, v131, v67                              // 000000008200: 0B068783
	buffer_load_dwordx4 a[8:11], v50, s[12:15], 0 offen        // 000000008204: E05C1000 80830832
	v_mul_f32_e32 v56, v132, v132                              // 00000000820C: 0A710984
	v_mul_f32_e32 v57, v133, v133                              // 000000008210: 0A730B85
	v_mul_f32_e32 v58, v134, v134                              // 000000008214: 0A750D86
	v_mul_f32_e32 v59, v135, v135                              // 000000008218: 0A770F87
	v_fma_f32 v56, v56, s77, v1                                // 00000000821C: D1CB0038 04049B38
	v_fma_f32 v57, v57, s77, v1                                // 000000008224: D1CB0039 04049B39
	v_fma_f32 v58, v58, s77, v1                                // 00000000822C: D1CB003A 04049B3A
	v_fma_f32 v59, v59, s77, v1                                // 000000008234: D1CB003B 04049B3B
	v_mul_f32_e32 v56, v56, v132                               // 00000000823C: 0A710938
	v_mul_f32_e32 v57, v57, v133                               // 000000008240: 0A730B39
	v_mul_f32_e32 v58, v58, v134                               // 000000008244: 0A750D3A
	v_mul_f32_e32 v59, v59, v135                               // 000000008248: 0A770F3B
	v_mul_f32_e64 v56, v56, s6                                 // 00000000824C: D1050038 00000D38
	v_mul_f32_e64 v57, v57, s6                                 // 000000008254: D1050039 00000D39
	v_mul_f32_e64 v58, v58, s6                                 // 00000000825C: D105003A 00000D3A
	v_mul_f32_e64 v59, v59, s6                                 // 000000008264: D105003B 00000D3B
	v_exp_f32_e32 v56, v56                                     // 00000000826C: 7E704138
	v_exp_f32_e32 v57, v57                                     // 000000008270: 7E724139
	v_exp_f32_e32 v58, v58                                     // 000000008274: 7E74413A
	v_exp_f32_e32 v59, v59                                     // 000000008278: 7E76413B
	buffer_load_dwordx4 a[12:15], v51, s[12:15], 0 offen       // 00000000827C: E05C1000 80830C33
	s_add_u32 s12, s78, s12                                    // 000000008284: 800C0C4E
	s_addc_u32 s13, 0, s13                                     // 000000008288: 820D0D80
	v_add_f32_e64 v56, v56, 1.0                                // 00000000828C: D1010038 0001E538
	v_add_f32_e64 v57, v57, 1.0                                // 000000008294: D1010039 0001E539
	v_add_f32_e64 v58, v58, 1.0                                // 00000000829C: D101003A 0001E53A
	v_add_f32_e64 v59, v59, 1.0                                // 0000000082A4: D101003B 0001E53B
	v_rcp_f32_e32 v56, v56                                     // 0000000082AC: 7E704538
	v_rcp_f32_e32 v57, v57                                     // 0000000082B0: 7E724539
	v_rcp_f32_e32 v58, v58                                     // 0000000082B4: 7E74453A
	v_rcp_f32_e32 v59, v59                                     // 0000000082B8: 7E76453B
	v_mul_f32_e32 v132, v132, v56                              // 0000000082BC: 0B087184
	v_mul_f32_e32 v133, v133, v57                              // 0000000082C0: 0B0A7385
	v_mul_f32_e32 v134, v134, v58                              // 0000000082C4: 0B0C7586
	v_mul_f32_e32 v135, v135, v59                              // 0000000082C8: 0B0E7787
	v_mul_f32_e32 v132, v132, v68                              // 0000000082CC: 0B088984
	v_mul_f32_e32 v133, v133, v69                              // 0000000082D0: 0B0A8B85
	v_mul_f32_e32 v134, v134, v70                              // 0000000082D4: 0B0C8D86
	v_mul_f32_e32 v135, v135, v71                              // 0000000082D8: 0B0E8F87
	s_waitcnt vmcnt(12)                                        // 0000000082DC: BF8C0F7C
	buffer_load_dwordx4 a[16:19], v48, s[12:15], 0 offen       // 0000000082E0: E05C1000 80831030
	v_mul_f32_e32 v56, v136, v136                              // 0000000082E8: 0A711188
	v_mul_f32_e32 v57, v137, v137                              // 0000000082EC: 0A731389
	v_mul_f32_e32 v58, v138, v138                              // 0000000082F0: 0A75158A
	v_mul_f32_e32 v59, v139, v139                              // 0000000082F4: 0A77178B
	v_fma_f32 v56, v56, s77, v1                                // 0000000082F8: D1CB0038 04049B38
	v_fma_f32 v57, v57, s77, v1                                // 000000008300: D1CB0039 04049B39
	v_fma_f32 v58, v58, s77, v1                                // 000000008308: D1CB003A 04049B3A
	v_fma_f32 v59, v59, s77, v1                                // 000000008310: D1CB003B 04049B3B
	v_mul_f32_e32 v56, v56, v136                               // 000000008318: 0A711138
	v_mul_f32_e32 v57, v57, v137                               // 00000000831C: 0A731339
	v_mul_f32_e32 v58, v58, v138                               // 000000008320: 0A75153A
	v_mul_f32_e32 v59, v59, v139                               // 000000008324: 0A77173B
	v_mul_f32_e64 v56, v56, s6                                 // 000000008328: D1050038 00000D38
	v_mul_f32_e64 v57, v57, s6                                 // 000000008330: D1050039 00000D39
	v_mul_f32_e64 v58, v58, s6                                 // 000000008338: D105003A 00000D3A
	v_mul_f32_e64 v59, v59, s6                                 // 000000008340: D105003B 00000D3B
	v_exp_f32_e32 v56, v56                                     // 000000008348: 7E704138
	v_exp_f32_e32 v57, v57                                     // 00000000834C: 7E724139
	v_exp_f32_e32 v58, v58                                     // 000000008350: 7E74413A
	v_exp_f32_e32 v59, v59                                     // 000000008354: 7E76413B
	buffer_load_dwordx4 a[20:23], v49, s[12:15], 0 offen       // 000000008358: E05C1000 80831431
	v_add_f32_e64 v56, v56, 1.0                                // 000000008360: D1010038 0001E538
	v_add_f32_e64 v57, v57, 1.0                                // 000000008368: D1010039 0001E539
	v_add_f32_e64 v58, v58, 1.0                                // 000000008370: D101003A 0001E53A
	v_add_f32_e64 v59, v59, 1.0                                // 000000008378: D101003B 0001E53B
	v_rcp_f32_e32 v56, v56                                     // 000000008380: 7E704538
	v_rcp_f32_e32 v57, v57                                     // 000000008384: 7E724539
	v_rcp_f32_e32 v58, v58                                     // 000000008388: 7E74453A
	v_rcp_f32_e32 v59, v59                                     // 00000000838C: 7E76453B
	v_mul_f32_e32 v136, v136, v56                              // 000000008390: 0B107188
	v_mul_f32_e32 v137, v137, v57                              // 000000008394: 0B127389
	v_mul_f32_e32 v138, v138, v58                              // 000000008398: 0B14758A
	v_mul_f32_e32 v139, v139, v59                              // 00000000839C: 0B16778B
	v_mul_f32_e32 v136, v136, v72                              // 0000000083A0: 0B109188
	v_mul_f32_e32 v137, v137, v73                              // 0000000083A4: 0B129389
	v_mul_f32_e32 v138, v138, v74                              // 0000000083A8: 0B14958A
	v_mul_f32_e32 v139, v139, v75                              // 0000000083AC: 0B16978B
	buffer_load_dwordx4 a[24:27], v50, s[12:15], 0 offen       // 0000000083B0: E05C1000 80831832
	v_mul_f32_e32 v56, v140, v140                              // 0000000083B8: 0A71198C
	v_mul_f32_e32 v57, v141, v141                              // 0000000083BC: 0A731B8D
	v_mul_f32_e32 v58, v142, v142                              // 0000000083C0: 0A751D8E
	v_mul_f32_e32 v59, v143, v143                              // 0000000083C4: 0A771F8F
	v_fma_f32 v56, v56, s77, v1                                // 0000000083C8: D1CB0038 04049B38
	v_fma_f32 v57, v57, s77, v1                                // 0000000083D0: D1CB0039 04049B39
	v_fma_f32 v58, v58, s77, v1                                // 0000000083D8: D1CB003A 04049B3A
	v_fma_f32 v59, v59, s77, v1                                // 0000000083E0: D1CB003B 04049B3B
	v_mul_f32_e32 v56, v56, v140                               // 0000000083E8: 0A711938
	v_mul_f32_e32 v57, v57, v141                               // 0000000083EC: 0A731B39
	v_mul_f32_e32 v58, v58, v142                               // 0000000083F0: 0A751D3A
	v_mul_f32_e32 v59, v59, v143                               // 0000000083F4: 0A771F3B
	v_mul_f32_e64 v56, v56, s6                                 // 0000000083F8: D1050038 00000D38
	v_mul_f32_e64 v57, v57, s6                                 // 000000008400: D1050039 00000D39
	v_mul_f32_e64 v58, v58, s6                                 // 000000008408: D105003A 00000D3A
	v_mul_f32_e64 v59, v59, s6                                 // 000000008410: D105003B 00000D3B
	v_exp_f32_e32 v56, v56                                     // 000000008418: 7E704138
	v_exp_f32_e32 v57, v57                                     // 00000000841C: 7E724139
	v_exp_f32_e32 v58, v58                                     // 000000008420: 7E74413A
	v_exp_f32_e32 v59, v59                                     // 000000008424: 7E76413B
	buffer_load_dwordx4 a[28:31], v51, s[12:15], 0 offen       // 000000008428: E05C1000 80831C33
	s_add_u32 s12, s78, s12                                    // 000000008430: 800C0C4E
	s_addc_u32 s13, 0, s13                                     // 000000008434: 820D0D80
	v_add_f32_e64 v56, v56, 1.0                                // 000000008438: D1010038 0001E538
	v_add_f32_e64 v57, v57, 1.0                                // 000000008440: D1010039 0001E539
	v_add_f32_e64 v58, v58, 1.0                                // 000000008448: D101003A 0001E53A
	v_add_f32_e64 v59, v59, 1.0                                // 000000008450: D101003B 0001E53B
	v_rcp_f32_e32 v56, v56                                     // 000000008458: 7E704538
	v_rcp_f32_e32 v57, v57                                     // 00000000845C: 7E724539
	v_rcp_f32_e32 v58, v58                                     // 000000008460: 7E74453A
	v_rcp_f32_e32 v59, v59                                     // 000000008464: 7E76453B
	v_mul_f32_e32 v140, v140, v56                              // 000000008468: 0B18718C
	v_mul_f32_e32 v141, v141, v57                              // 00000000846C: 0B1A738D
	v_mul_f32_e32 v142, v142, v58                              // 000000008470: 0B1C758E
	v_mul_f32_e32 v143, v143, v59                              // 000000008474: 0B1E778F
	v_mul_f32_e32 v140, v140, v76                              // 000000008478: 0B18998C
	v_mul_f32_e32 v141, v141, v77                              // 00000000847C: 0B1A9B8D
	v_mul_f32_e32 v142, v142, v78                              // 000000008480: 0B1C9D8E
	v_mul_f32_e32 v143, v143, v79                              // 000000008484: 0B1E9F8F
	s_waitcnt vmcnt(12)                                        // 000000008488: BF8C0F7C
	buffer_load_dwordx4 a[32:35], v48, s[12:15], 0 offen       // 00000000848C: E05C1000 80832030
	v_mul_f32_e32 v56, v144, v144                              // 000000008494: 0A712190
	v_mul_f32_e32 v57, v145, v145                              // 000000008498: 0A732391
	v_mul_f32_e32 v58, v146, v146                              // 00000000849C: 0A752592
	v_mul_f32_e32 v59, v147, v147                              // 0000000084A0: 0A772793
	v_fma_f32 v56, v56, s77, v1                                // 0000000084A4: D1CB0038 04049B38
	v_fma_f32 v57, v57, s77, v1                                // 0000000084AC: D1CB0039 04049B39
	v_fma_f32 v58, v58, s77, v1                                // 0000000084B4: D1CB003A 04049B3A
	v_fma_f32 v59, v59, s77, v1                                // 0000000084BC: D1CB003B 04049B3B
	v_mul_f32_e32 v56, v56, v144                               // 0000000084C4: 0A712138
	v_mul_f32_e32 v57, v57, v145                               // 0000000084C8: 0A732339
	v_mul_f32_e32 v58, v58, v146                               // 0000000084CC: 0A75253A
	v_mul_f32_e32 v59, v59, v147                               // 0000000084D0: 0A77273B
	v_mul_f32_e64 v56, v56, s6                                 // 0000000084D4: D1050038 00000D38
	v_mul_f32_e64 v57, v57, s6                                 // 0000000084DC: D1050039 00000D39
	v_mul_f32_e64 v58, v58, s6                                 // 0000000084E4: D105003A 00000D3A
	v_mul_f32_e64 v59, v59, s6                                 // 0000000084EC: D105003B 00000D3B
	v_exp_f32_e32 v56, v56                                     // 0000000084F4: 7E704138
	v_exp_f32_e32 v57, v57                                     // 0000000084F8: 7E724139
	v_exp_f32_e32 v58, v58                                     // 0000000084FC: 7E74413A
	v_exp_f32_e32 v59, v59                                     // 000000008500: 7E76413B
	buffer_load_dwordx4 a[36:39], v49, s[12:15], 0 offen       // 000000008504: E05C1000 80832431
	v_add_f32_e64 v56, v56, 1.0                                // 00000000850C: D1010038 0001E538
	v_add_f32_e64 v57, v57, 1.0                                // 000000008514: D1010039 0001E539
	v_add_f32_e64 v58, v58, 1.0                                // 00000000851C: D101003A 0001E53A
	v_add_f32_e64 v59, v59, 1.0                                // 000000008524: D101003B 0001E53B
	v_rcp_f32_e32 v56, v56                                     // 00000000852C: 7E704538
	v_rcp_f32_e32 v57, v57                                     // 000000008530: 7E724539
	v_rcp_f32_e32 v58, v58                                     // 000000008534: 7E74453A
	v_rcp_f32_e32 v59, v59                                     // 000000008538: 7E76453B
	v_mul_f32_e32 v144, v144, v56                              // 00000000853C: 0B207190
	v_mul_f32_e32 v145, v145, v57                              // 000000008540: 0B227391
	v_mul_f32_e32 v146, v146, v58                              // 000000008544: 0B247592
	v_mul_f32_e32 v147, v147, v59                              // 000000008548: 0B267793
	v_mul_f32_e32 v144, v144, v80                              // 00000000854C: 0B20A190
	v_mul_f32_e32 v145, v145, v81                              // 000000008550: 0B22A391
	v_mul_f32_e32 v146, v146, v82                              // 000000008554: 0B24A592
	v_mul_f32_e32 v147, v147, v83                              // 000000008558: 0B26A793
	buffer_load_dwordx4 a[40:43], v50, s[12:15], 0 offen       // 00000000855C: E05C1000 80832832
	v_mul_f32_e32 v56, v148, v148                              // 000000008564: 0A712994
	v_mul_f32_e32 v57, v149, v149                              // 000000008568: 0A732B95
	v_mul_f32_e32 v58, v150, v150                              // 00000000856C: 0A752D96
	v_mul_f32_e32 v59, v151, v151                              // 000000008570: 0A772F97
	v_fma_f32 v56, v56, s77, v1                                // 000000008574: D1CB0038 04049B38
	v_fma_f32 v57, v57, s77, v1                                // 00000000857C: D1CB0039 04049B39
	v_fma_f32 v58, v58, s77, v1                                // 000000008584: D1CB003A 04049B3A
	v_fma_f32 v59, v59, s77, v1                                // 00000000858C: D1CB003B 04049B3B
	v_mul_f32_e32 v56, v56, v148                               // 000000008594: 0A712938
	v_mul_f32_e32 v57, v57, v149                               // 000000008598: 0A732B39
	v_mul_f32_e32 v58, v58, v150                               // 00000000859C: 0A752D3A
	v_mul_f32_e32 v59, v59, v151                               // 0000000085A0: 0A772F3B
	v_mul_f32_e64 v56, v56, s6                                 // 0000000085A4: D1050038 00000D38
	v_mul_f32_e64 v57, v57, s6                                 // 0000000085AC: D1050039 00000D39
	v_mul_f32_e64 v58, v58, s6                                 // 0000000085B4: D105003A 00000D3A
	v_mul_f32_e64 v59, v59, s6                                 // 0000000085BC: D105003B 00000D3B
	v_exp_f32_e32 v56, v56                                     // 0000000085C4: 7E704138
	v_exp_f32_e32 v57, v57                                     // 0000000085C8: 7E724139
	v_exp_f32_e32 v58, v58                                     // 0000000085CC: 7E74413A
	v_exp_f32_e32 v59, v59                                     // 0000000085D0: 7E76413B
	buffer_load_dwordx4 a[44:47], v51, s[12:15], 0 offen       // 0000000085D4: E05C1000 80832C33
	s_add_u32 s12, s78, s12                                    // 0000000085DC: 800C0C4E
	s_addc_u32 s13, 0, s13                                     // 0000000085E0: 820D0D80
	v_add_f32_e64 v56, v56, 1.0                                // 0000000085E4: D1010038 0001E538
	v_add_f32_e64 v57, v57, 1.0                                // 0000000085EC: D1010039 0001E539
	v_add_f32_e64 v58, v58, 1.0                                // 0000000085F4: D101003A 0001E53A
	v_add_f32_e64 v59, v59, 1.0                                // 0000000085FC: D101003B 0001E53B
	v_rcp_f32_e32 v56, v56                                     // 000000008604: 7E704538
	v_rcp_f32_e32 v57, v57                                     // 000000008608: 7E724539
	v_rcp_f32_e32 v58, v58                                     // 00000000860C: 7E74453A
	v_rcp_f32_e32 v59, v59                                     // 000000008610: 7E76453B
	v_mul_f32_e32 v148, v148, v56                              // 000000008614: 0B287194
	v_mul_f32_e32 v149, v149, v57                              // 000000008618: 0B2A7395
	v_mul_f32_e32 v150, v150, v58                              // 00000000861C: 0B2C7596
	v_mul_f32_e32 v151, v151, v59                              // 000000008620: 0B2E7797
	v_mul_f32_e32 v148, v148, v84                              // 000000008624: 0B28A994
	v_mul_f32_e32 v149, v149, v85                              // 000000008628: 0B2AAB95
	v_mul_f32_e32 v150, v150, v86                              // 00000000862C: 0B2CAD96
	v_mul_f32_e32 v151, v151, v87                              // 000000008630: 0B2EAF97
	s_waitcnt vmcnt(12)                                        // 000000008634: BF8C0F7C
	buffer_load_dwordx4 a[48:51], v48, s[12:15], 0 offen       // 000000008638: E05C1000 80833030
	v_mul_f32_e32 v56, v152, v152                              // 000000008640: 0A713198
	v_mul_f32_e32 v57, v153, v153                              // 000000008644: 0A733399
	v_mul_f32_e32 v58, v154, v154                              // 000000008648: 0A75359A
	v_mul_f32_e32 v59, v155, v155                              // 00000000864C: 0A77379B
	v_fma_f32 v56, v56, s77, v1                                // 000000008650: D1CB0038 04049B38
	v_fma_f32 v57, v57, s77, v1                                // 000000008658: D1CB0039 04049B39
	v_fma_f32 v58, v58, s77, v1                                // 000000008660: D1CB003A 04049B3A
	v_fma_f32 v59, v59, s77, v1                                // 000000008668: D1CB003B 04049B3B
	v_mul_f32_e32 v56, v56, v152                               // 000000008670: 0A713138
	v_mul_f32_e32 v57, v57, v153                               // 000000008674: 0A733339
	v_mul_f32_e32 v58, v58, v154                               // 000000008678: 0A75353A
	v_mul_f32_e32 v59, v59, v155                               // 00000000867C: 0A77373B
	v_mul_f32_e64 v56, v56, s6                                 // 000000008680: D1050038 00000D38
	v_mul_f32_e64 v57, v57, s6                                 // 000000008688: D1050039 00000D39
	v_mul_f32_e64 v58, v58, s6                                 // 000000008690: D105003A 00000D3A
	v_mul_f32_e64 v59, v59, s6                                 // 000000008698: D105003B 00000D3B
	v_exp_f32_e32 v56, v56                                     // 0000000086A0: 7E704138
	v_exp_f32_e32 v57, v57                                     // 0000000086A4: 7E724139
	v_exp_f32_e32 v58, v58                                     // 0000000086A8: 7E74413A
	v_exp_f32_e32 v59, v59                                     // 0000000086AC: 7E76413B
	buffer_load_dwordx4 a[52:55], v49, s[12:15], 0 offen       // 0000000086B0: E05C1000 80833431
	v_add_f32_e64 v56, v56, 1.0                                // 0000000086B8: D1010038 0001E538
	v_add_f32_e64 v57, v57, 1.0                                // 0000000086C0: D1010039 0001E539
	v_add_f32_e64 v58, v58, 1.0                                // 0000000086C8: D101003A 0001E53A
	v_add_f32_e64 v59, v59, 1.0                                // 0000000086D0: D101003B 0001E53B
	v_rcp_f32_e32 v56, v56                                     // 0000000086D8: 7E704538
	v_rcp_f32_e32 v57, v57                                     // 0000000086DC: 7E724539
	v_rcp_f32_e32 v58, v58                                     // 0000000086E0: 7E74453A
	v_rcp_f32_e32 v59, v59                                     // 0000000086E4: 7E76453B
	v_mul_f32_e32 v152, v152, v56                              // 0000000086E8: 0B307198
	v_mul_f32_e32 v153, v153, v57                              // 0000000086EC: 0B327399
	v_mul_f32_e32 v154, v154, v58                              // 0000000086F0: 0B34759A
	v_mul_f32_e32 v155, v155, v59                              // 0000000086F4: 0B36779B
	v_mul_f32_e32 v152, v152, v88                              // 0000000086F8: 0B30B198
	v_mul_f32_e32 v153, v153, v89                              // 0000000086FC: 0B32B399
	v_mul_f32_e32 v154, v154, v90                              // 000000008700: 0B34B59A
	v_mul_f32_e32 v155, v155, v91                              // 000000008704: 0B36B79B
	buffer_load_dwordx4 a[56:59], v50, s[12:15], 0 offen       // 000000008708: E05C1000 80833832
	v_mul_f32_e32 v56, v156, v156                              // 000000008710: 0A71399C
	v_mul_f32_e32 v57, v157, v157                              // 000000008714: 0A733B9D
	v_mul_f32_e32 v58, v158, v158                              // 000000008718: 0A753D9E
	v_mul_f32_e32 v59, v159, v159                              // 00000000871C: 0A773F9F
	v_fma_f32 v56, v56, s77, v1                                // 000000008720: D1CB0038 04049B38
	v_fma_f32 v57, v57, s77, v1                                // 000000008728: D1CB0039 04049B39
	v_fma_f32 v58, v58, s77, v1                                // 000000008730: D1CB003A 04049B3A
	v_fma_f32 v59, v59, s77, v1                                // 000000008738: D1CB003B 04049B3B
	v_mul_f32_e32 v56, v56, v156                               // 000000008740: 0A713938
	v_mul_f32_e32 v57, v57, v157                               // 000000008744: 0A733B39
	v_mul_f32_e32 v58, v58, v158                               // 000000008748: 0A753D3A
	v_mul_f32_e32 v59, v59, v159                               // 00000000874C: 0A773F3B
	v_mul_f32_e64 v56, v56, s6                                 // 000000008750: D1050038 00000D38
	v_mul_f32_e64 v57, v57, s6                                 // 000000008758: D1050039 00000D39
	v_mul_f32_e64 v58, v58, s6                                 // 000000008760: D105003A 00000D3A
	v_mul_f32_e64 v59, v59, s6                                 // 000000008768: D105003B 00000D3B
	v_exp_f32_e32 v56, v56                                     // 000000008770: 7E704138
	v_exp_f32_e32 v57, v57                                     // 000000008774: 7E724139
	v_exp_f32_e32 v58, v58                                     // 000000008778: 7E74413A
	v_exp_f32_e32 v59, v59                                     // 00000000877C: 7E76413B
	buffer_load_dwordx4 a[60:63], v51, s[12:15], 0 offen       // 000000008780: E05C1000 80833C33
	v_add_f32_e64 v56, v56, 1.0                                // 000000008788: D1010038 0001E538
	v_add_f32_e64 v57, v57, 1.0                                // 000000008790: D1010039 0001E539
	v_add_f32_e64 v58, v58, 1.0                                // 000000008798: D101003A 0001E53A
	v_add_f32_e64 v59, v59, 1.0                                // 0000000087A0: D101003B 0001E53B
	v_rcp_f32_e32 v56, v56                                     // 0000000087A8: 7E704538
	v_rcp_f32_e32 v57, v57                                     // 0000000087AC: 7E724539
	v_rcp_f32_e32 v58, v58                                     // 0000000087B0: 7E74453A
	v_rcp_f32_e32 v59, v59                                     // 0000000087B4: 7E76453B
	v_mul_f32_e32 v156, v156, v56                              // 0000000087B8: 0B38719C
	v_mul_f32_e32 v157, v157, v57                              // 0000000087BC: 0B3A739D
	v_mul_f32_e32 v158, v158, v58                              // 0000000087C0: 0B3C759E
	v_mul_f32_e32 v159, v159, v59                              // 0000000087C4: 0B3E779F
	v_mul_f32_e32 v156, v156, v92                              // 0000000087C8: 0B38B99C
	v_mul_f32_e32 v157, v157, v93                              // 0000000087CC: 0B3ABB9D
	v_mul_f32_e32 v158, v158, v94                              // 0000000087D0: 0B3CBD9E
	v_mul_f32_e32 v159, v159, v95                              // 0000000087D4: 0B3EBF9F
	v_lshlrev_b32_e32 v56, 2, v0                               // 0000000087D8: 24700082
	s_mul_i32 s60, s82, s71                                    // 0000000087DC: 923C4752
	v_add_u32_e64 v80, v56, s60                                // 0000000087E0: D1340050 00007938
	v_mov_b32_e32 v81, 0                                       // 0000000087E8: 7EA20280
	s_mul_i32 s60, s83, s71                                    // 0000000087EC: 923C4753
	v_add_u32_e64 v82, v56, s60                                // 0000000087F0: D1340052 00007938
	v_mov_b32_e32 v83, 0                                       // 0000000087F8: 7EA60280
	s_mul_i32 s60, s84, s71                                    // 0000000087FC: 923C4754
	v_add_u32_e64 v84, v56, s60                                // 000000008800: D1340054 00007938
	v_mov_b32_e32 v85, 0                                       // 000000008808: 7EAA0280
	s_mul_i32 s60, s85, s71                                    // 00000000880C: 923C4755
	v_add_u32_e64 v86, v56, s60                                // 000000008810: D1340056 00007938
	v_mov_b32_e32 v87, 0                                       // 000000008818: 7EAE0280
	s_mul_i32 s60, s86, s71                                    // 00000000881C: 923C4756
	v_add_u32_e64 v88, v56, s60                                // 000000008820: D1340058 00007938
	v_mov_b32_e32 v89, 0                                       // 000000008828: 7EB20280
	s_mul_i32 s60, s87, s71                                    // 00000000882C: 923C4757
	v_add_u32_e64 v90, v56, s60                                // 000000008830: D134005A 00007938
	v_mov_b32_e32 v91, 0                                       // 000000008838: 7EB60280
	s_mul_i32 s60, s88, s71                                    // 00000000883C: 923C4758
	v_add_u32_e64 v92, v56, s60                                // 000000008840: D134005C 00007938
	v_mov_b32_e32 v93, 0                                       // 000000008848: 7EBA0280
	s_mul_i32 s60, s89, s71                                    // 00000000884C: 923C4759
	v_add_u32_e64 v94, v56, s60                                // 000000008850: D134005E 00007938
	v_mov_b32_e32 v95, 0                                       // 000000008858: 7EBE0280
	buffer_load_dword v23, v6, s[16:19], 0 offen               // 00000000885C: E0501000 80041706
	v_mov_b32_e32 v28, 0x358637bd                              // 000000008864: 7E3802FF 358637BD
	v_mov_b32_e32 v29, 0x358637bd                              // 00000000886C: 7E3A02FF 358637BD
	v_max3_f32 v28, |v128|, |v129|, v28                        // 000000008874: D1D3031C 04730380
	v_max3_f32 v28, |v130|, |v131|, v28                        // 00000000887C: D1D3031C 04730782
	v_max3_f32 v29, |v132|, |v133|, v29                        // 000000008884: D1D3031D 04770B84
	v_max3_f32 v29, |v134|, |v135|, v29                        // 00000000888C: D1D3031D 04770F86
	v_max3_f32 v28, |v136|, |v137|, v28                        // 000000008894: D1D3031C 04731388
	v_max3_f32 v28, |v138|, |v139|, v28                        // 00000000889C: D1D3031C 0473178A
	v_max3_f32 v29, |v140|, |v141|, v29                        // 0000000088A4: D1D3031D 04771B8C
	v_max3_f32 v29, |v142|, |v143|, v29                        // 0000000088AC: D1D3031D 04771F8E
	v_lshlrev_b32_e32 v56, 3, v0                               // 0000000088B4: 24700083
	s_mul_i32 s60, 0x200, s7                                   // 0000000088B8: 923C07FF 00000200
	v_add_u32_e32 v56, s60, v56                                // 0000000088C0: 6870703C
	ds_write_b64 v56, v[28:29] offset:18688                    // 0000000088C4: D89A4900 00001C38
	s_waitcnt lgkmcnt(0)                                       // 0000000088CC: BF8CC07F
	s_barrier                                                  // 0000000088D0: BF8A0000
	v_and_b32_e32 v56, 15, v0                                  // 0000000088D4: 2670008F
	v_lshlrev_b32_e32 v56, 3, v56                              // 0000000088D8: 24707083
	ds_read_b64 v[96:97], v56 offset:18688                     // 0000000088DC: D8EC4900 60000038
	ds_read_b64 v[98:99], v56 offset:18816                     // 0000000088E4: D8EC4980 62000038
	ds_read_b64 v[100:101], v56 offset:18944                   // 0000000088EC: D8EC4A00 64000038
	ds_read_b64 v[102:103], v56 offset:19072                   // 0000000088F4: D8EC4A80 66000038
	ds_read_b64 v[104:105], v56 offset:19200                   // 0000000088FC: D8EC4B00 68000038
	ds_read_b64 v[106:107], v56 offset:19328                   // 000000008904: D8EC4B80 6A000038
	ds_read_b64 v[108:109], v56 offset:19456                   // 00000000890C: D8EC4C00 6C000038
	ds_read_b64 v[110:111], v56 offset:19584                   // 000000008914: D8EC4C80 6E000038
	ds_read_b64 v[112:113], v56 offset:19712                   // 00000000891C: D8EC4D00 70000038
	ds_read_b64 v[114:115], v56 offset:19840                   // 000000008924: D8EC4D80 72000038
	ds_read_b64 v[116:117], v56 offset:19968                   // 00000000892C: D8EC4E00 74000038
	ds_read_b64 v[118:119], v56 offset:20096                   // 000000008934: D8EC4E80 76000038
	ds_read_b64 v[120:121], v56 offset:20224                   // 00000000893C: D8EC4F00 78000038
	ds_read_b64 v[122:123], v56 offset:20352                   // 000000008944: D8EC4F80 7A000038
	ds_read_b64 v[124:125], v56 offset:20480                   // 00000000894C: D8EC5000 7C000038
	ds_read_b64 v[126:127], v56 offset:20608                   // 000000008954: D8EC5080 7E000038
	s_waitcnt lgkmcnt(0)                                       // 00000000895C: BF8CC07F
	v_max3_f32 v28, |v96|, |v98|, v28                          // 000000008960: D1D3031C 0472C560
	v_max3_f32 v29, |v97|, |v99|, v29                          // 000000008968: D1D3031D 0476C761
	v_max3_f32 v28, |v100|, |v102|, v28                        // 000000008970: D1D3031C 0472CD64
	v_max3_f32 v29, |v101|, |v103|, v29                        // 000000008978: D1D3031D 0476CF65
	v_max3_f32 v28, |v104|, |v106|, v28                        // 000000008980: D1D3031C 0472D568
	v_max3_f32 v29, |v105|, |v107|, v29                        // 000000008988: D1D3031D 0476D769
	v_max3_f32 v28, |v108|, |v110|, v28                        // 000000008990: D1D3031C 0472DD6C
	v_max3_f32 v29, |v109|, |v111|, v29                        // 000000008998: D1D3031D 0476DF6D
	v_max3_f32 v28, |v112|, |v114|, v28                        // 0000000089A0: D1D3031C 0472E570
	v_max3_f32 v29, |v113|, |v115|, v29                        // 0000000089A8: D1D3031D 0476E771
	v_max3_f32 v28, |v116|, |v118|, v28                        // 0000000089B0: D1D3031C 0472ED74
	v_max3_f32 v29, |v117|, |v119|, v29                        // 0000000089B8: D1D3031D 0476EF75
	v_max3_f32 v28, |v120|, |v122|, v28                        // 0000000089C0: D1D3031C 0472F578
	v_max3_f32 v29, |v121|, |v123|, v29                        // 0000000089C8: D1D3031D 0476F779
	v_max3_f32 v28, |v124|, |v126|, v28                        // 0000000089D0: D1D3031C 0472FD7C
	v_max3_f32 v29, |v125|, |v127|, v29                        // 0000000089D8: D1D3031D 0476FF7D
	v_rcp_f32_e32 v28, v28                                     // 0000000089E0: 7E38451C
	v_rcp_f32_e32 v29, v29                                     // 0000000089E4: 7E3A451D
	v_mov_b32_e32 v56, 0x43700000                              // 0000000089E8: 7E7002FF 43700000
	v_mul_f32_e32 v28, v56, v28                                // 0000000089F0: 0A383938
	v_mul_f32_e32 v29, v56, v29                                // 0000000089F4: 0A3A3B38
	v_mul_f32_e32 v128, v28, v128                              // 0000000089F8: 0B01011C
	v_mul_f32_e32 v129, v28, v129                              // 0000000089FC: 0B03031C
	v_mul_f32_e32 v130, v28, v130                              // 000000008A00: 0B05051C
	v_mul_f32_e32 v131, v28, v131                              // 000000008A04: 0B07071C
	v_cvt_pk_fp8_f32 v128, v128, v129                          // 000000008A08: D2A20080 00030380
	v_cvt_pk_fp8_f32 v128, v130, v131 op_sel:[0,0,1]           // 000000008A10: D2A24080 00030782
	v_mul_f32_e32 v132, v29, v132                              // 000000008A18: 0B09091D
	v_mul_f32_e32 v133, v29, v133                              // 000000008A1C: 0B0B0B1D
	v_mul_f32_e32 v134, v29, v134                              // 000000008A20: 0B0D0D1D
	v_mul_f32_e32 v135, v29, v135                              // 000000008A24: 0B0F0F1D
	v_cvt_pk_fp8_f32 v129, v132, v133                          // 000000008A28: D2A20081 00030B84
	v_cvt_pk_fp8_f32 v129, v134, v135 op_sel:[0,0,1]           // 000000008A30: D2A24081 00030F86
	v_mul_f32_e32 v136, v28, v136                              // 000000008A38: 0B11111C
	v_mul_f32_e32 v137, v28, v137                              // 000000008A3C: 0B13131C
	v_mul_f32_e32 v138, v28, v138                              // 000000008A40: 0B15151C
	v_mul_f32_e32 v139, v28, v139                              // 000000008A44: 0B17171C
	v_cvt_pk_fp8_f32 v130, v136, v137                          // 000000008A48: D2A20082 00031388
	v_cvt_pk_fp8_f32 v130, v138, v139 op_sel:[0,0,1]           // 000000008A50: D2A24082 0003178A
	v_mul_f32_e32 v140, v29, v140                              // 000000008A58: 0B19191D
	v_mul_f32_e32 v141, v29, v141                              // 000000008A5C: 0B1B1B1D
	v_mul_f32_e32 v142, v29, v142                              // 000000008A60: 0B1D1D1D
	v_mul_f32_e32 v143, v29, v143                              // 000000008A64: 0B1F1F1D
	v_cvt_pk_fp8_f32 v131, v140, v141                          // 000000008A68: D2A20083 00031B8C
	v_cvt_pk_fp8_f32 v131, v142, v143 op_sel:[0,0,1]           // 000000008A70: D2A24083 00031F8E
	v_rcp_f32_e32 v32, v28                                     // 000000008A78: 7E40451C
	v_rcp_f32_e32 v33, v29                                     // 000000008A7C: 7E42451D
	v_mov_b32_e32 v30, 0x358637bd                              // 000000008A80: 7E3C02FF 358637BD
	v_mov_b32_e32 v31, 0x358637bd                              // 000000008A88: 7E3E02FF 358637BD
	v_max3_f32 v30, |v144|, |v145|, v30                        // 000000008A90: D1D3031E 047B2390
	v_max3_f32 v30, |v146|, |v147|, v30                        // 000000008A98: D1D3031E 047B2792
	v_max3_f32 v31, |v148|, |v149|, v31                        // 000000008AA0: D1D3031F 047F2B94
	v_max3_f32 v31, |v150|, |v151|, v31                        // 000000008AA8: D1D3031F 047F2F96
	v_max3_f32 v30, |v152|, |v153|, v30                        // 000000008AB0: D1D3031E 047B3398
	v_max3_f32 v30, |v154|, |v155|, v30                        // 000000008AB8: D1D3031E 047B379A
	v_max3_f32 v31, |v156|, |v157|, v31                        // 000000008AC0: D1D3031F 047F3B9C
	v_max3_f32 v31, |v158|, |v159|, v31                        // 000000008AC8: D1D3031F 047F3F9E
	v_lshlrev_b32_e32 v56, 3, v0                               // 000000008AD0: 24700083
	s_mul_i32 s60, 0x200, s7                                   // 000000008AD4: 923C07FF 00000200
	v_add_u32_e32 v56, s60, v56                                // 000000008ADC: 6870703C
	ds_write_b64 v56, v[30:31] offset:18688                    // 000000008AE0: D89A4900 00001E38
	s_waitcnt lgkmcnt(0)                                       // 000000008AE8: BF8CC07F
	s_barrier                                                  // 000000008AEC: BF8A0000
	v_and_b32_e32 v56, 15, v0                                  // 000000008AF0: 2670008F
	v_lshlrev_b32_e32 v56, 3, v56                              // 000000008AF4: 24707083
	ds_read_b64 v[96:97], v56 offset:18688                     // 000000008AF8: D8EC4900 60000038
	ds_read_b64 v[98:99], v56 offset:18816                     // 000000008B00: D8EC4980 62000038
	ds_read_b64 v[100:101], v56 offset:18944                   // 000000008B08: D8EC4A00 64000038
	ds_read_b64 v[102:103], v56 offset:19072                   // 000000008B10: D8EC4A80 66000038
	ds_read_b64 v[104:105], v56 offset:19200                   // 000000008B18: D8EC4B00 68000038
	ds_read_b64 v[106:107], v56 offset:19328                   // 000000008B20: D8EC4B80 6A000038
	ds_read_b64 v[108:109], v56 offset:19456                   // 000000008B28: D8EC4C00 6C000038
	ds_read_b64 v[110:111], v56 offset:19584                   // 000000008B30: D8EC4C80 6E000038
	ds_read_b64 v[112:113], v56 offset:19712                   // 000000008B38: D8EC4D00 70000038
	ds_read_b64 v[114:115], v56 offset:19840                   // 000000008B40: D8EC4D80 72000038
	ds_read_b64 v[116:117], v56 offset:19968                   // 000000008B48: D8EC4E00 74000038
	ds_read_b64 v[118:119], v56 offset:20096                   // 000000008B50: D8EC4E80 76000038
	ds_read_b64 v[120:121], v56 offset:20224                   // 000000008B58: D8EC4F00 78000038
	ds_read_b64 v[122:123], v56 offset:20352                   // 000000008B60: D8EC4F80 7A000038
	ds_read_b64 v[124:125], v56 offset:20480                   // 000000008B68: D8EC5000 7C000038
	ds_read_b64 v[126:127], v56 offset:20608                   // 000000008B70: D8EC5080 7E000038
	s_waitcnt lgkmcnt(0)                                       // 000000008B78: BF8CC07F
	v_max3_f32 v30, |v96|, |v98|, v30                          // 000000008B7C: D1D3031E 047AC560
	v_max3_f32 v31, |v97|, |v99|, v31                          // 000000008B84: D1D3031F 047EC761
	v_max3_f32 v30, |v100|, |v102|, v30                        // 000000008B8C: D1D3031E 047ACD64
	v_max3_f32 v31, |v101|, |v103|, v31                        // 000000008B94: D1D3031F 047ECF65
	v_max3_f32 v30, |v104|, |v106|, v30                        // 000000008B9C: D1D3031E 047AD568
	v_max3_f32 v31, |v105|, |v107|, v31                        // 000000008BA4: D1D3031F 047ED769
	v_max3_f32 v30, |v108|, |v110|, v30                        // 000000008BAC: D1D3031E 047ADD6C
	v_max3_f32 v31, |v109|, |v111|, v31                        // 000000008BB4: D1D3031F 047EDF6D
	v_max3_f32 v30, |v112|, |v114|, v30                        // 000000008BBC: D1D3031E 047AE570
	v_max3_f32 v31, |v113|, |v115|, v31                        // 000000008BC4: D1D3031F 047EE771
	v_max3_f32 v30, |v116|, |v118|, v30                        // 000000008BCC: D1D3031E 047AED74
	v_max3_f32 v31, |v117|, |v119|, v31                        // 000000008BD4: D1D3031F 047EEF75
	v_max3_f32 v30, |v120|, |v122|, v30                        // 000000008BDC: D1D3031E 047AF578
	v_max3_f32 v31, |v121|, |v123|, v31                        // 000000008BE4: D1D3031F 047EF779
	v_max3_f32 v30, |v124|, |v126|, v30                        // 000000008BEC: D1D3031E 047AFD7C
	v_max3_f32 v31, |v125|, |v127|, v31                        // 000000008BF4: D1D3031F 047EFF7D
	v_rcp_f32_e32 v30, v30                                     // 000000008BFC: 7E3C451E
	v_rcp_f32_e32 v31, v31                                     // 000000008C00: 7E3E451F
	v_mov_b32_e32 v56, 0x43700000                              // 000000008C04: 7E7002FF 43700000
	v_mul_f32_e32 v30, v56, v30                                // 000000008C0C: 0A3C3D38
	v_mul_f32_e32 v31, v56, v31                                // 000000008C10: 0A3E3F38
	v_mul_f32_e32 v144, v30, v144                              // 000000008C14: 0B21211E
	v_mul_f32_e32 v145, v30, v145                              // 000000008C18: 0B23231E
	v_mul_f32_e32 v146, v30, v146                              // 000000008C1C: 0B25251E
	v_mul_f32_e32 v147, v30, v147                              // 000000008C20: 0B27271E
	v_cvt_pk_fp8_f32 v132, v144, v145                          // 000000008C24: D2A20084 00032390
	v_cvt_pk_fp8_f32 v132, v146, v147 op_sel:[0,0,1]           // 000000008C2C: D2A24084 00032792
	v_mul_f32_e32 v148, v31, v148                              // 000000008C34: 0B29291F
	v_mul_f32_e32 v149, v31, v149                              // 000000008C38: 0B2B2B1F
	v_mul_f32_e32 v150, v31, v150                              // 000000008C3C: 0B2D2D1F
	v_mul_f32_e32 v151, v31, v151                              // 000000008C40: 0B2F2F1F
	v_cvt_pk_fp8_f32 v133, v148, v149                          // 000000008C44: D2A20085 00032B94
	v_cvt_pk_fp8_f32 v133, v150, v151 op_sel:[0,0,1]           // 000000008C4C: D2A24085 00032F96
	v_mul_f32_e32 v152, v30, v152                              // 000000008C54: 0B31311E
	v_mul_f32_e32 v153, v30, v153                              // 000000008C58: 0B33331E
	v_mul_f32_e32 v154, v30, v154                              // 000000008C5C: 0B35351E
	v_mul_f32_e32 v155, v30, v155                              // 000000008C60: 0B37371E
	v_cvt_pk_fp8_f32 v134, v152, v153                          // 000000008C64: D2A20086 00033398
	v_cvt_pk_fp8_f32 v134, v154, v155 op_sel:[0,0,1]           // 000000008C6C: D2A24086 0003379A
	v_mul_f32_e32 v156, v31, v156                              // 000000008C74: 0B39391F
	v_mul_f32_e32 v157, v31, v157                              // 000000008C78: 0B3B3B1F
	v_mul_f32_e32 v158, v31, v158                              // 000000008C7C: 0B3D3D1F
	v_mul_f32_e32 v159, v31, v159                              // 000000008C80: 0B3F3F1F
	v_cvt_pk_fp8_f32 v135, v156, v157                          // 000000008C84: D2A20087 00033B9C
	v_cvt_pk_fp8_f32 v135, v158, v159 op_sel:[0,0,1]           // 000000008C8C: D2A24087 00033F9E
	v_rcp_f32_e32 v34, v30                                     // 000000008C94: 7E44451E
	v_rcp_f32_e32 v35, v31                                     // 000000008C98: 7E46451F
	v_lshrrev_b32_e32 v56, 5, v0                               // 000000008C9C: 20700085
	v_lshlrev_b32_e32 v57, 5, v56                              // 000000008CA0: 24727085
	v_and_b32_e32 v56, 31, v0                                  // 000000008CA4: 2670009F
	v_lshrrev_b32_e32 v58, 4, v56                              // 000000008CA8: 20747084
	v_add_u32_e32 v57, v58, v57                                // 000000008CAC: 6872733A
	v_and_b32_e32 v56, 15, v0                                  // 000000008CB0: 2670008F
	v_lshlrev_b32_e32 v56, 1, v56                              // 000000008CB4: 24707081
	v_add_u32_e32 v57, v56, v57                                // 000000008CB8: 68727338
	v_lshlrev_b32_e32 v56, 2, v57                              // 000000008CBC: 24707282
	s_mul_i32 s60, 0x100, s7                                   // 000000008CC0: 923C07FF 00000100
	v_add_u32_e64 v56, v56, s60                                // 000000008CC8: D1340038 00007938
	ds_write_b32 v56, v128 offset:20736                        // 000000008CD0: D81A5100 00008038
	ds_write_b32 v56, v129 offset:24832                        // 000000008CD8: D81A6100 00008138
	ds_write_b32 v56, v130 offset:21760                        // 000000008CE0: D81A5500 00008238
	ds_write_b32 v56, v131 offset:25856                        // 000000008CE8: D81A6500 00008338
	ds_write_b32 v56, v132 offset:22784                        // 000000008CF0: D81A5900 00008438
	ds_write_b32 v56, v133 offset:26880                        // 000000008CF8: D81A6900 00008538
	ds_write_b32 v56, v134 offset:23808                        // 000000008D00: D81A5D00 00008638
	ds_write_b32 v56, v135 offset:27904                        // 000000008D08: D81A6D00 00008738
	s_waitcnt lgkmcnt(0)                                       // 000000008D10: BF8CC07F
	s_barrier                                                  // 000000008D14: BF8A0000
	v_lshrrev_b32_e32 v56, 4, v0                               // 000000008D18: 20700084
	v_lshlrev_b32_e32 v57, 6, v56                              // 000000008D1C: 24727086
	v_and_b32_e32 v56, 15, v0                                  // 000000008D20: 2670008F
	v_lshlrev_b32_e32 v56, 1, v56                              // 000000008D24: 24707081
	v_add_u32_e32 v57, v56, v57                                // 000000008D28: 68727338
	v_lshlrev_b32_e32 v56, 2, v57                              // 000000008D2C: 24707282
	ds_read_b64 v[128:129], v56 offset:20736                   // 000000008D30: D8EC5100 80000038
	ds_read_b64 v[130:131], v56 offset:20864                   // 000000008D38: D8EC5180 82000038
	ds_read_b64 v[132:133], v56 offset:21760                   // 000000008D40: D8EC5500 84000038
	ds_read_b64 v[134:135], v56 offset:21888                   // 000000008D48: D8EC5580 86000038
	ds_read_b64 v[136:137], v56 offset:22784                   // 000000008D50: D8EC5900 88000038
	ds_read_b64 v[138:139], v56 offset:22912                   // 000000008D58: D8EC5980 8A000038
	ds_read_b64 v[140:141], v56 offset:23808                   // 000000008D60: D8EC5D00 8C000038
	ds_read_b64 v[142:143], v56 offset:23936                   // 000000008D68: D8EC5D80 8E000038
	ds_read_b64 v[144:145], v56 offset:24832                   // 000000008D70: D8EC6100 90000038
	ds_read_b64 v[146:147], v56 offset:24960                   // 000000008D78: D8EC6180 92000038
	ds_read_b64 v[148:149], v56 offset:25856                   // 000000008D80: D8EC6500 94000038
	ds_read_b64 v[150:151], v56 offset:25984                   // 000000008D88: D8EC6580 96000038
	ds_read_b64 v[152:153], v56 offset:26880                   // 000000008D90: D8EC6900 98000038
	ds_read_b64 v[154:155], v56 offset:27008                   // 000000008D98: D8EC6980 9A000038
	ds_read_b64 v[156:157], v56 offset:27904                   // 000000008DA0: D8EC6D00 9C000038
	ds_read_b64 v[158:159], v56 offset:28032                   // 000000008DA8: D8EC6D80 9E000038
	s_add_u32 s12, s56, s12                                    // 000000008DB0: 800C0C38
	s_addc_u32 s13, 0, s13                                     // 000000008DB4: 820D0D80
	s_add_u32 s16, s79, s16                                    // 000000008DB8: 8010104F
	s_addc_u32 s17, 0, s17                                     // 000000008DBC: 82111180
	s_waitcnt lgkmcnt(0)                                       // 000000008DC0: BF8CC07F
	s_barrier                                                  // 000000008DC4: BF8A0000
	v_mov_b32_e32 v192, 0                                      // 000000008DC8: 7F800280
	v_mov_b32_e32 v224, 0                                      // 000000008DCC: 7FC00280
	v_mov_b32_e32 v193, 0                                      // 000000008DD0: 7F820280
	v_mov_b32_e32 v225, 0                                      // 000000008DD4: 7FC20280
	v_mov_b32_e32 v194, 0                                      // 000000008DD8: 7F840280
	v_mov_b32_e32 v226, 0                                      // 000000008DDC: 7FC40280
	v_mov_b32_e32 v195, 0                                      // 000000008DE0: 7F860280
	v_mov_b32_e32 v227, 0                                      // 000000008DE4: 7FC60280
	v_mov_b32_e32 v196, 0                                      // 000000008DE8: 7F880280
	v_mov_b32_e32 v228, 0                                      // 000000008DEC: 7FC80280
	v_mov_b32_e32 v197, 0                                      // 000000008DF0: 7F8A0280
	v_mov_b32_e32 v229, 0                                      // 000000008DF4: 7FCA0280
	v_mov_b32_e32 v198, 0                                      // 000000008DF8: 7F8C0280
	v_mov_b32_e32 v230, 0                                      // 000000008DFC: 7FCC0280
	v_mov_b32_e32 v199, 0                                      // 000000008E00: 7F8E0280
	v_mov_b32_e32 v231, 0                                      // 000000008E04: 7FCE0280
	v_mov_b32_e32 v200, 0                                      // 000000008E08: 7F900280
	v_mov_b32_e32 v232, 0                                      // 000000008E0C: 7FD00280
	v_mov_b32_e32 v201, 0                                      // 000000008E10: 7F920280
	v_mov_b32_e32 v233, 0                                      // 000000008E14: 7FD20280
	v_mov_b32_e32 v202, 0                                      // 000000008E18: 7F940280
	v_mov_b32_e32 v234, 0                                      // 000000008E1C: 7FD40280
	v_mov_b32_e32 v203, 0                                      // 000000008E20: 7F960280
	v_mov_b32_e32 v235, 0                                      // 000000008E24: 7FD60280
	v_mov_b32_e32 v204, 0                                      // 000000008E28: 7F980280
	v_mov_b32_e32 v236, 0                                      // 000000008E2C: 7FD80280
	v_mov_b32_e32 v205, 0                                      // 000000008E30: 7F9A0280
	v_mov_b32_e32 v237, 0                                      // 000000008E34: 7FDA0280
	v_mov_b32_e32 v206, 0                                      // 000000008E38: 7F9C0280
	v_mov_b32_e32 v238, 0                                      // 000000008E3C: 7FDC0280
	v_mov_b32_e32 v207, 0                                      // 000000008E40: 7F9E0280
	v_mov_b32_e32 v239, 0                                      // 000000008E44: 7FDE0280
	ds_write_b64 v4, v[192:193] offset:20736                   // 000000008E48: D89A5100 0000C004
	ds_write_b64 v4, v[194:195] offset:29440                   // 000000008E50: D89A7300 0000C204
	ds_write_b64 v4, v[196:197] offset:22912                   // 000000008E58: D89A5980 0000C404
	ds_write_b64 v4, v[198:199] offset:31616                   // 000000008E60: D89A7B80 0000C604
	ds_write_b64 v4, v[200:201] offset:25088                   // 000000008E68: D89A6200 0000C804
	ds_write_b64 v4, v[202:203] offset:33792                   // 000000008E70: D89A8400 0000CA04
	ds_write_b64 v4, v[204:205] offset:27264                   // 000000008E78: D89A6A80 0000CC04
	ds_write_b64 v4, v[206:207] offset:35968                   // 000000008E80: D89A8C80 0000CE04
	s_mov_b32 s80, 0                                           // 000000008E88: BED00080
	s_waitcnt vmcnt(0) expcnt(0) lgkmcnt(0)                    // 000000008E8C: BF8C0000

0000000000008e90 <label_1824>:
	s_waitcnt vmcnt(28) lgkmcnt(0)                             // 000000008E90: BF8C407C
	s_barrier                                                  // 000000008E94: BF8A0000
	v_mfma_f32_16x16x32_fp8_fp8 v[192:195], a[0:1], v[128:129], 0// 000000008E98: D3F300C0 0A030100
	buffer_load_dwordx4 a[64:67], v48, s[12:15], 0 offen       // 000000008EA0: E05C1000 80834030
	v_mfma_f32_16x16x32_fp8_fp8 v[192:195], a[2:3], v[130:131], v[192:195]// 000000008EA8: D3F300C0 0F030502
	ds_read_b32 v64, v5 offset:20736                           // 000000008EB0: D86C5100 40000005
	ds_read_b32 v65, v5 offset:25088                           // 000000008EB8: D86C6200 41000005
	v_mfma_f32_16x16x32_fp8_fp8 v[196:199], a[0:1], v[144:145], 0// 000000008EC0: D3F300C4 0A032100
	buffer_load_dword v24, v6, s[16:19], 0 offen               // 000000008EC8: E0501000 80041806
	v_mfma_f32_16x16x32_fp8_fp8 v[196:199], a[2:3], v[146:147], v[196:199]// 000000008ED0: D3F300C4 0F132502
	ds_read_b32 v66, v5 offset:20768                           // 000000008ED8: D86C5120 42000005
	ds_read_b32 v67, v5 offset:25120                           // 000000008EE0: D86C6220 43000005
	v_mfma_f32_16x16x32_fp8_fp8 v[200:203], a[4:5], v[128:129], 0// 000000008EE8: D3F300C8 0A030104
	buffer_load_dwordx4 a[68:71], v49, s[12:15], 0 offen       // 000000008EF0: E05C1000 80834431
	v_mfma_f32_16x16x32_fp8_fp8 v[200:203], a[6:7], v[130:131], v[200:203]// 000000008EF8: D3F300C8 0F230506
	ds_read_b32 v68, v5 offset:20800                           // 000000008F00: D86C5140 44000005
	ds_read_b32 v69, v5 offset:25152                           // 000000008F08: D86C6240 45000005
	v_mfma_f32_16x16x32_fp8_fp8 v[204:207], a[4:5], v[144:145], 0// 000000008F10: D3F300CC 0A032104
	v_mfma_f32_16x16x32_fp8_fp8 v[204:207], a[6:7], v[146:147], v[204:207]// 000000008F18: D3F300CC 0F332506
	ds_read_b32 v70, v5 offset:20832                           // 000000008F20: D86C5160 46000005
	ds_read_b32 v71, v5 offset:25184                           // 000000008F28: D86C6260 47000005
	v_mfma_f32_16x16x32_fp8_fp8 v[208:211], a[8:9], v[128:129], 0// 000000008F30: D3F300D0 0A030108
	buffer_load_dwordx4 a[72:75], v50, s[12:15], 0 offen       // 000000008F38: E05C1000 80834832
	v_mfma_f32_16x16x32_fp8_fp8 v[208:211], a[10:11], v[130:131], v[208:211]// 000000008F40: D3F300D0 0F43050A
	ds_read_b32 v72, v5 offset:29440                           // 000000008F48: D86C7300 48000005
	ds_read_b32 v73, v5 offset:33792                           // 000000008F50: D86C8400 49000005
	v_mfma_f32_16x16x32_fp8_fp8 v[212:215], a[8:9], v[144:145], 0// 000000008F58: D3F300D4 0A032108
	v_mfma_f32_16x16x32_fp8_fp8 v[212:215], a[10:11], v[146:147], v[212:215]// 000000008F60: D3F300D4 0F53250A
	ds_read_b32 v74, v5 offset:29472                           // 000000008F68: D86C7320 4A000005
	ds_read_b32 v75, v5 offset:33824                           // 000000008F70: D86C8420 4B000005
	v_mfma_f32_16x16x32_fp8_fp8 v[216:219], a[12:13], v[128:129], 0// 000000008F78: D3F300D8 0A03010C
	buffer_load_dwordx4 a[76:79], v51, s[12:15], 0 offen       // 000000008F80: E05C1000 80834C33
	s_add_u32 s12, s78, s12                                    // 000000008F88: 800C0C4E
	s_addc_u32 s13, 0, s13                                     // 000000008F8C: 820D0D80
	v_mfma_f32_16x16x32_fp8_fp8 v[216:219], a[14:15], v[130:131], v[216:219]// 000000008F90: D3F300D8 0F63050E
	ds_read_b32 v76, v5 offset:29504                           // 000000008F98: D86C7340 4C000005
	ds_read_b32 v77, v5 offset:33856                           // 000000008FA0: D86C8440 4D000005
	v_mfma_f32_16x16x32_fp8_fp8 v[220:223], a[12:13], v[144:145], 0// 000000008FA8: D3F300DC 0A03210C
	v_mfma_f32_16x16x32_fp8_fp8 v[220:223], a[14:15], v[146:147], v[220:223]// 000000008FB0: D3F300DC 0F73250E
	ds_read_b32 v78, v5 offset:29536                           // 000000008FB8: D86C7360 4E000005
	ds_read_b32 v79, v5 offset:33888                           // 000000008FC0: D86C8460 4F000005
	s_waitcnt vmcnt(29)                                        // 000000008FC8: BF8C4F7D
	v_mfma_f32_16x16x32_fp8_fp8 v[192:195], a[16:17], v[132:133], v[192:195]// 000000008FCC: D3F300C0 0F030910
	buffer_load_dwordx4 a[80:83], v48, s[12:15], 0 offen       // 000000008FD4: E05C1000 80835030
	v_mfma_f32_16x16x32_fp8_fp8 v[192:195], a[18:19], v[134:135], v[192:195]// 000000008FDC: D3F300C0 0F030D12
	v_mfma_f32_16x16x32_fp8_fp8 v[196:199], a[16:17], v[148:149], v[196:199]// 000000008FE4: D3F300C4 0F132910
	v_mfma_f32_16x16x32_fp8_fp8 v[196:199], a[18:19], v[150:151], v[196:199]// 000000008FEC: D3F300C4 0F132D12
	v_mfma_f32_16x16x32_fp8_fp8 v[200:203], a[20:21], v[132:133], v[200:203]// 000000008FF4: D3F300C8 0F230914
	buffer_load_dwordx4 a[84:87], v49, s[12:15], 0 offen       // 000000008FFC: E05C1000 80835431
	v_mfma_f32_16x16x32_fp8_fp8 v[200:203], a[22:23], v[134:135], v[200:203]// 000000009004: D3F300C8 0F230D16
	v_mfma_f32_16x16x32_fp8_fp8 v[204:207], a[20:21], v[148:149], v[204:207]// 00000000900C: D3F300CC 0F332914
	v_mfma_f32_16x16x32_fp8_fp8 v[204:207], a[22:23], v[150:151], v[204:207]// 000000009014: D3F300CC 0F332D16
	v_mfma_f32_16x16x32_fp8_fp8 v[208:211], a[24:25], v[132:133], v[208:211]// 00000000901C: D3F300D0 0F430918
	buffer_load_dwordx4 a[88:91], v50, s[12:15], 0 offen       // 000000009024: E05C1000 80835832
	v_mfma_f32_16x16x32_fp8_fp8 v[208:211], a[26:27], v[134:135], v[208:211]// 00000000902C: D3F300D0 0F430D1A
	v_mfma_f32_16x16x32_fp8_fp8 v[212:215], a[24:25], v[148:149], v[212:215]// 000000009034: D3F300D4 0F532918
	v_mfma_f32_16x16x32_fp8_fp8 v[212:215], a[26:27], v[150:151], v[212:215]// 00000000903C: D3F300D4 0F532D1A
	v_mfma_f32_16x16x32_fp8_fp8 v[216:219], a[28:29], v[132:133], v[216:219]// 000000009044: D3F300D8 0F63091C
	buffer_load_dwordx4 a[92:95], v51, s[12:15], 0 offen       // 00000000904C: E05C1000 80835C33
	s_add_u32 s12, s78, s12                                    // 000000009054: 800C0C4E
	s_addc_u32 s13, 0, s13                                     // 000000009058: 820D0D80
	v_mfma_f32_16x16x32_fp8_fp8 v[216:219], a[30:31], v[134:135], v[216:219]// 00000000905C: D3F300D8 0F630D1E
	v_mfma_f32_16x16x32_fp8_fp8 v[220:223], a[28:29], v[148:149], v[220:223]// 000000009064: D3F300DC 0F73291C
	v_mfma_f32_16x16x32_fp8_fp8 v[220:223], a[30:31], v[150:151], v[220:223]// 00000000906C: D3F300DC 0F732D1E
	v_mul_f32_dpp v56, v23, v32 row_newbcast:0 row_mask:0xf bank_mask:0xf// 000000009074: 0A7040FA FF015017
	v_mov_b32_e32 v57, v56                                     // 00000000907C: 7E720338
	v_pk_mul_f32 v[192:193], v[56:57], v[192:193]              // 000000009080: D3B140C0 18038138
	v_pk_mul_f32 v[194:195], v[56:57], v[194:195]              // 000000009088: D3B140C2 18038538
	v_pk_mul_f32 v[200:201], v[56:57], v[200:201]              // 000000009090: D3B140C8 18039138
	v_pk_mul_f32 v[202:203], v[56:57], v[202:203]              // 000000009098: D3B140CA 18039538
	v_mul_f32_dpp v56, v23, v32 row_newbcast:1 row_mask:0xf bank_mask:0xf// 0000000090A0: 0A7040FA FF015117
	v_mov_b32_e32 v57, v56                                     // 0000000090A8: 7E720338
	v_pk_mul_f32 v[208:209], v[56:57], v[208:209]              // 0000000090AC: D3B140D0 1803A138
	v_pk_mul_f32 v[210:211], v[56:57], v[210:211]              // 0000000090B4: D3B140D2 1803A538
	v_pk_mul_f32 v[216:217], v[56:57], v[216:217]              // 0000000090BC: D3B140D8 1803B138
	v_pk_mul_f32 v[218:219], v[56:57], v[218:219]              // 0000000090C4: D3B140DA 1803B538
	v_mul_f32_dpp v56, v23, v33 row_newbcast:0 row_mask:0xf bank_mask:0xf// 0000000090CC: 0A7042FA FF015017
	v_mov_b32_e32 v57, v56                                     // 0000000090D4: 7E720338
	v_pk_mul_f32 v[196:197], v[56:57], v[196:197]              // 0000000090D8: D3B140C4 18038938
	v_pk_mul_f32 v[198:199], v[56:57], v[198:199]              // 0000000090E0: D3B140C6 18038D38
	v_pk_mul_f32 v[204:205], v[56:57], v[204:205]              // 0000000090E8: D3B140CC 18039938
	v_pk_mul_f32 v[206:207], v[56:57], v[206:207]              // 0000000090F0: D3B140CE 18039D38
	v_mul_f32_dpp v56, v23, v33 row_newbcast:1 row_mask:0xf bank_mask:0xf// 0000000090F8: 0A7042FA FF015117
	v_mov_b32_e32 v57, v56                                     // 000000009100: 7E720338
	v_pk_mul_f32 v[212:213], v[56:57], v[212:213]              // 000000009104: D3B140D4 1803A938
	v_pk_mul_f32 v[214:215], v[56:57], v[214:215]              // 00000000910C: D3B140D6 1803AD38
	v_pk_mul_f32 v[220:221], v[56:57], v[220:221]              // 000000009114: D3B140DC 1803B938
	v_pk_mul_f32 v[222:223], v[56:57], v[222:223]              // 00000000911C: D3B140DE 1803BD38
	s_waitcnt vmcnt(29)                                        // 000000009124: BF8C4F7D
	v_mfma_f32_16x16x32_fp8_fp8 v[160:163], a[32:33], v[136:137], 0// 000000009128: D3F300A0 0A031120
	buffer_load_dwordx4 a[96:99], v48, s[12:15], 0 offen       // 000000009130: E05C1000 80836030
	v_mfma_f32_16x16x32_fp8_fp8 v[160:163], a[34:35], v[138:139], v[160:163]// 000000009138: D3F300A0 0E831522
	ds_write_b64 v4, v[224:225] offset:38144                   // 000000009140: D89A9500 0000E004
	v_mfma_f32_16x16x32_fp8_fp8 v[164:167], a[32:33], v[152:153], 0// 000000009148: D3F300A4 0A033120
	v_mfma_f32_16x16x32_fp8_fp8 v[164:167], a[34:35], v[154:155], v[164:167]// 000000009150: D3F300A4 0E933522
	ds_write_b64 v4, v[226:227] offset:46848                   // 000000009158: D89AB700 0000E204
	v_mfma_f32_16x16x32_fp8_fp8 v[168:171], a[36:37], v[136:137], 0// 000000009160: D3F300A8 0A031124
	buffer_load_dwordx4 a[100:103], v49, s[12:15], 0 offen     // 000000009168: E05C1000 80836431
	v_mfma_f32_16x16x32_fp8_fp8 v[168:171], a[38:39], v[138:139], v[168:171]// 000000009170: D3F300A8 0EA31526
	ds_write_b64 v4, v[228:229] offset:40320                   // 000000009178: D89A9D80 0000E404
	v_mfma_f32_16x16x32_fp8_fp8 v[172:175], a[36:37], v[152:153], 0// 000000009180: D3F300AC 0A033124
	v_mfma_f32_16x16x32_fp8_fp8 v[172:175], a[38:39], v[154:155], v[172:175]// 000000009188: D3F300AC 0EB33526
	ds_write_b64 v4, v[230:231] offset:49024                   // 000000009190: D89ABF80 0000E604
	v_mfma_f32_16x16x32_fp8_fp8 v[176:179], a[40:41], v[136:137], 0// 000000009198: D3F300B0 0A031128
	buffer_load_dwordx4 a[104:107], v50, s[12:15], 0 offen     // 0000000091A0: E05C1000 80836832
	v_mfma_f32_16x16x32_fp8_fp8 v[176:179], a[42:43], v[138:139], v[176:179]// 0000000091A8: D3F300B0 0EC3152A
	ds_write_b64 v4, v[232:233] offset:42496                   // 0000000091B0: D89AA600 0000E804
	v_mfma_f32_16x16x32_fp8_fp8 v[180:183], a[40:41], v[152:153], 0// 0000000091B8: D3F300B4 0A033128
	v_mfma_f32_16x16x32_fp8_fp8 v[180:183], a[42:43], v[154:155], v[180:183]// 0000000091C0: D3F300B4 0ED3352A
	ds_write_b64 v4, v[234:235] offset:51200                   // 0000000091C8: D89AC800 0000EA04
	v_mfma_f32_16x16x32_fp8_fp8 v[184:187], a[44:45], v[136:137], 0// 0000000091D0: D3F300B8 0A03112C
	buffer_load_dwordx4 a[108:111], v51, s[12:15], 0 offen     // 0000000091D8: E05C1000 80836C33
	s_add_u32 s12, s78, s12                                    // 0000000091E0: 800C0C4E
	s_addc_u32 s13, 0, s13                                     // 0000000091E4: 820D0D80
	v_mfma_f32_16x16x32_fp8_fp8 v[184:187], a[46:47], v[138:139], v[184:187]// 0000000091E8: D3F300B8 0EE3152E
	ds_write_b64 v4, v[236:237] offset:44672                   // 0000000091F0: D89AAE80 0000EC04
	v_mfma_f32_16x16x32_fp8_fp8 v[188:191], a[44:45], v[152:153], 0// 0000000091F8: D3F300BC 0A03312C
	v_mfma_f32_16x16x32_fp8_fp8 v[188:191], a[46:47], v[154:155], v[188:191]// 000000009200: D3F300BC 0EF3352E
	ds_write_b64 v4, v[238:239] offset:53376                   // 000000009208: D89AD080 0000EE04
	s_waitcnt vmcnt(29)                                        // 000000009210: BF8C4F7D
	v_mfma_f32_16x16x32_fp8_fp8 v[160:163], a[48:49], v[140:141], v[160:163]// 000000009214: D3F300A0 0E831930
	buffer_load_dwordx4 a[112:115], v48, s[12:15], 0 offen     // 00000000921C: E05C1000 80837030
	v_mfma_f32_16x16x32_fp8_fp8 v[160:163], a[50:51], v[142:143], v[160:163]// 000000009224: D3F300A0 0E831D32
	v_mfma_f32_16x16x32_fp8_fp8 v[164:167], a[48:49], v[156:157], v[164:167]// 00000000922C: D3F300A4 0E933930
	v_mfma_f32_16x16x32_fp8_fp8 v[164:167], a[50:51], v[158:159], v[164:167]// 000000009234: D3F300A4 0E933D32
	v_mfma_f32_16x16x32_fp8_fp8 v[168:171], a[52:53], v[140:141], v[168:171]// 00000000923C: D3F300A8 0EA31934
	buffer_load_dwordx4 a[116:119], v49, s[12:15], 0 offen     // 000000009244: E05C1000 80837431
	v_mfma_f32_16x16x32_fp8_fp8 v[168:171], a[54:55], v[142:143], v[168:171]// 00000000924C: D3F300A8 0EA31D36
	v_mfma_f32_16x16x32_fp8_fp8 v[172:175], a[52:53], v[156:157], v[172:175]// 000000009254: D3F300AC 0EB33934
	v_mfma_f32_16x16x32_fp8_fp8 v[172:175], a[54:55], v[158:159], v[172:175]// 00000000925C: D3F300AC 0EB33D36
	v_mfma_f32_16x16x32_fp8_fp8 v[176:179], a[56:57], v[140:141], v[176:179]// 000000009264: D3F300B0 0EC31938
	buffer_load_dwordx4 a[120:123], v50, s[12:15], 0 offen     // 00000000926C: E05C1000 80837832
	v_mfma_f32_16x16x32_fp8_fp8 v[176:179], a[58:59], v[142:143], v[176:179]// 000000009274: D3F300B0 0EC31D3A
	v_mfma_f32_16x16x32_fp8_fp8 v[180:183], a[56:57], v[156:157], v[180:183]// 00000000927C: D3F300B4 0ED33938
	v_mfma_f32_16x16x32_fp8_fp8 v[180:183], a[58:59], v[158:159], v[180:183]// 000000009284: D3F300B4 0ED33D3A
	v_mfma_f32_16x16x32_fp8_fp8 v[184:187], a[60:61], v[140:141], v[184:187]// 00000000928C: D3F300B8 0EE3193C
	buffer_load_dwordx4 a[124:127], v51, s[12:15], 0 offen     // 000000009294: E05C1000 80837C33
	v_mfma_f32_16x16x32_fp8_fp8 v[184:187], a[62:63], v[142:143], v[184:187]// 00000000929C: D3F300B8 0EE31D3E
	v_mfma_f32_16x16x32_fp8_fp8 v[188:191], a[60:61], v[156:157], v[188:191]// 0000000092A4: D3F300BC 0EF3393C
	v_mfma_f32_16x16x32_fp8_fp8 v[188:191], a[62:63], v[158:159], v[188:191]// 0000000092AC: D3F300BC 0EF33D3E
	v_mul_f32_dpp v56, v23, v34 row_newbcast:2 row_mask:0xf bank_mask:0xf// 0000000092B4: 0A7044FA FF015217
	v_mov_b32_e32 v57, v56                                     // 0000000092BC: 7E720338
	v_pk_fma_f32 v[192:193], v[160:161], v[56:57], v[192:193]  // 0000000092C0: D3B040C0 1F0271A0
	v_pk_fma_f32 v[194:195], v[162:163], v[56:57], v[194:195]  // 0000000092C8: D3B040C2 1F0A71A2
	v_pk_fma_f32 v[200:201], v[168:169], v[56:57], v[200:201]  // 0000000092D0: D3B040C8 1F2271A8
	v_pk_fma_f32 v[202:203], v[170:171], v[56:57], v[202:203]  // 0000000092D8: D3B040CA 1F2A71AA
	v_mul_f32_dpp v56, v23, v34 row_newbcast:3 row_mask:0xf bank_mask:0xf// 0000000092E0: 0A7044FA FF015317
	v_mov_b32_e32 v57, v56                                     // 0000000092E8: 7E720338
	v_pk_fma_f32 v[208:209], v[176:177], v[56:57], v[208:209]  // 0000000092EC: D3B040D0 1F4271B0
	v_pk_fma_f32 v[210:211], v[178:179], v[56:57], v[210:211]  // 0000000092F4: D3B040D2 1F4A71B2
	v_pk_fma_f32 v[216:217], v[184:185], v[56:57], v[216:217]  // 0000000092FC: D3B040D8 1F6271B8
	v_pk_fma_f32 v[218:219], v[186:187], v[56:57], v[218:219]  // 000000009304: D3B040DA 1F6A71BA
	v_mul_f32_dpp v56, v23, v35 row_newbcast:2 row_mask:0xf bank_mask:0xf// 00000000930C: 0A7046FA FF015217
	v_mov_b32_e32 v57, v56                                     // 000000009314: 7E720338
	v_pk_fma_f32 v[196:197], v[164:165], v[56:57], v[196:197]  // 000000009318: D3B040C4 1F1271A4
	v_pk_fma_f32 v[198:199], v[166:167], v[56:57], v[198:199]  // 000000009320: D3B040C6 1F1A71A6
	v_pk_fma_f32 v[204:205], v[172:173], v[56:57], v[204:205]  // 000000009328: D3B040CC 1F3271AC
	v_pk_fma_f32 v[206:207], v[174:175], v[56:57], v[206:207]  // 000000009330: D3B040CE 1F3A71AE
	v_mul_f32_dpp v56, v23, v35 row_newbcast:3 row_mask:0xf bank_mask:0xf// 000000009338: 0A7046FA FF015317
	v_mov_b32_e32 v57, v56                                     // 000000009340: 7E720338
	v_pk_fma_f32 v[212:213], v[180:181], v[56:57], v[212:213]  // 000000009344: D3B040D4 1F5271B4
	v_pk_fma_f32 v[214:215], v[182:183], v[56:57], v[214:215]  // 00000000934C: D3B040D6 1F5A71B6
	v_pk_fma_f32 v[220:221], v[188:189], v[56:57], v[220:221]  // 000000009354: D3B040DC 1F7271BC
	v_pk_fma_f32 v[222:223], v[190:191], v[56:57], v[222:223]  // 00000000935C: D3B040DE 1F7A71BE
	s_add_u32 s60, 0x200, s80                                  // 000000009364: 803C50FF 00000200
	s_cmp_lt_u32 s60, s81                                      // 00000000936C: BF0A513C
	s_cselect_b32 s56, s56, 0                                  // 000000009370: 85388038
	s_cselect_b32 s78, s78, 0                                  // 000000009374: 854E804E
	s_cselect_b32 s79, s79, 0                                  // 000000009378: 854F804F
	s_add_u32 s12, s56, s12                                    // 00000000937C: 800C0C38
	s_addc_u32 s13, 0, s13                                     // 000000009380: 820D0D80
	s_add_u32 s16, s79, s16                                    // 000000009384: 8010104F
	s_addc_u32 s17, 0, s17                                     // 000000009388: 82111180
	v_mov_b32_e32 v56, v25                                     // 00000000938C: 7E700319
	v_mov_b32_e32 v57, v25                                     // 000000009390: 7E720319
	v_pk_mul_f32 v[192:193], v[56:57], v[192:193]              // 000000009394: D3B140C0 18038138
	v_pk_mul_f32 v[194:195], v[56:57], v[194:195]              // 00000000939C: D3B140C2 18038538
	v_pk_mul_f32 v[200:201], v[56:57], v[200:201]              // 0000000093A4: D3B140C8 18039138
	v_pk_mul_f32 v[202:203], v[56:57], v[202:203]              // 0000000093AC: D3B140CA 18039538
	v_pk_mul_f32 v[208:209], v[56:57], v[208:209]              // 0000000093B4: D3B140D0 1803A138
	v_pk_mul_f32 v[210:211], v[56:57], v[210:211]              // 0000000093BC: D3B140D2 1803A538
	v_pk_mul_f32 v[216:217], v[56:57], v[216:217]              // 0000000093C4: D3B140D8 1803B138
	v_pk_mul_f32 v[218:219], v[56:57], v[218:219]              // 0000000093CC: D3B140DA 1803B538
	v_mov_b32_e32 v56, v26                                     // 0000000093D4: 7E70031A
	v_mov_b32_e32 v57, v26                                     // 0000000093D8: 7E72031A
	v_pk_mul_f32 v[196:197], v[56:57], v[196:197]              // 0000000093DC: D3B140C4 18038938
	v_pk_mul_f32 v[198:199], v[56:57], v[198:199]              // 0000000093E4: D3B140C6 18038D38
	v_pk_mul_f32 v[204:205], v[56:57], v[204:205]              // 0000000093EC: D3B140CC 18039938
	v_pk_mul_f32 v[206:207], v[56:57], v[206:207]              // 0000000093F4: D3B140CE 18039D38
	v_pk_mul_f32 v[212:213], v[56:57], v[212:213]              // 0000000093FC: D3B140D4 1803A938
	v_pk_mul_f32 v[214:215], v[56:57], v[214:215]              // 000000009404: D3B140D6 1803AD38
	v_pk_mul_f32 v[220:221], v[56:57], v[220:221]              // 00000000940C: D3B140DC 1803B938
	v_pk_mul_f32 v[222:223], v[56:57], v[222:223]              // 000000009414: D3B140DE 1803BD38
	v_cmp_u_f32_e64 s[48:49], v192, v192                       // 00000000941C: D0480030 000381C0
	v_add3_u32 v52, v192, v55, 1                               // 000000009424: D1FF0034 02066FC0
	v_cndmask_b32_e64 v56, v52, v54, s[48:49]                  // 00000000942C: D1000038 00C26D34
	v_cmp_u_f32_e64 s[48:49], v193, v193                       // 000000009434: D0480030 000383C1
	v_add3_u32 v52, v193, v55, 1                               // 00000000943C: D1FF0034 02066FC1
	v_cndmask_b32_e64 v57, v52, v54, s[48:49]                  // 000000009444: D1000039 00C26D34
	v_perm_b32 v192, v57, v56, s52                             // 00000000944C: D1ED00C0 00D27139
	v_cmp_u_f32_e64 s[48:49], v194, v194                       // 000000009454: D0480030 000385C2
	v_add3_u32 v52, v194, v55, 1                               // 00000000945C: D1FF0034 02066FC2
	v_cndmask_b32_e64 v56, v52, v54, s[48:49]                  // 000000009464: D1000038 00C26D34
	v_cmp_u_f32_e64 s[48:49], v195, v195                       // 00000000946C: D0480030 000387C3
	v_add3_u32 v52, v195, v55, 1                               // 000000009474: D1FF0034 02066FC3
	v_cndmask_b32_e64 v57, v52, v54, s[48:49]                  // 00000000947C: D1000039 00C26D34
	v_perm_b32 v193, v57, v56, s52                             // 000000009484: D1ED00C1 00D27139
	v_cmp_u_f32_e64 s[48:49], v196, v196                       // 00000000948C: D0480030 000389C4
	v_add3_u32 v52, v196, v55, 1                               // 000000009494: D1FF0034 02066FC4
	v_cndmask_b32_e64 v56, v52, v54, s[48:49]                  // 00000000949C: D1000038 00C26D34
	v_cmp_u_f32_e64 s[48:49], v197, v197                       // 0000000094A4: D0480030 00038BC5
	v_add3_u32 v52, v197, v55, 1                               // 0000000094AC: D1FF0034 02066FC5
	v_cndmask_b32_e64 v57, v52, v54, s[48:49]                  // 0000000094B4: D1000039 00C26D34
	v_perm_b32 v194, v57, v56, s52                             // 0000000094BC: D1ED00C2 00D27139
	v_cmp_u_f32_e64 s[48:49], v198, v198                       // 0000000094C4: D0480030 00038DC6
	v_add3_u32 v52, v198, v55, 1                               // 0000000094CC: D1FF0034 02066FC6
	v_cndmask_b32_e64 v56, v52, v54, s[48:49]                  // 0000000094D4: D1000038 00C26D34
	v_cmp_u_f32_e64 s[48:49], v199, v199                       // 0000000094DC: D0480030 00038FC7
	v_add3_u32 v52, v199, v55, 1                               // 0000000094E4: D1FF0034 02066FC7
	v_cndmask_b32_e64 v57, v52, v54, s[48:49]                  // 0000000094EC: D1000039 00C26D34
	v_perm_b32 v195, v57, v56, s52                             // 0000000094F4: D1ED00C3 00D27139
	v_cmp_u_f32_e64 s[48:49], v200, v200                       // 0000000094FC: D0480030 000391C8
	v_add3_u32 v52, v200, v55, 1                               // 000000009504: D1FF0034 02066FC8
	v_cndmask_b32_e64 v56, v52, v54, s[48:49]                  // 00000000950C: D1000038 00C26D34
	v_cmp_u_f32_e64 s[48:49], v201, v201                       // 000000009514: D0480030 000393C9
	v_add3_u32 v52, v201, v55, 1                               // 00000000951C: D1FF0034 02066FC9
	v_cndmask_b32_e64 v57, v52, v54, s[48:49]                  // 000000009524: D1000039 00C26D34
	v_perm_b32 v196, v57, v56, s52                             // 00000000952C: D1ED00C4 00D27139
	v_cmp_u_f32_e64 s[48:49], v202, v202                       // 000000009534: D0480030 000395CA
	v_add3_u32 v52, v202, v55, 1                               // 00000000953C: D1FF0034 02066FCA
	v_cndmask_b32_e64 v56, v52, v54, s[48:49]                  // 000000009544: D1000038 00C26D34
	v_cmp_u_f32_e64 s[48:49], v203, v203                       // 00000000954C: D0480030 000397CB
	v_add3_u32 v52, v203, v55, 1                               // 000000009554: D1FF0034 02066FCB
	v_cndmask_b32_e64 v57, v52, v54, s[48:49]                  // 00000000955C: D1000039 00C26D34
	v_perm_b32 v197, v57, v56, s52                             // 000000009564: D1ED00C5 00D27139
	v_cmp_u_f32_e64 s[48:49], v204, v204                       // 00000000956C: D0480030 000399CC
	v_add3_u32 v52, v204, v55, 1                               // 000000009574: D1FF0034 02066FCC
	v_cndmask_b32_e64 v56, v52, v54, s[48:49]                  // 00000000957C: D1000038 00C26D34
	v_cmp_u_f32_e64 s[48:49], v205, v205                       // 000000009584: D0480030 00039BCD
	v_add3_u32 v52, v205, v55, 1                               // 00000000958C: D1FF0034 02066FCD
	v_cndmask_b32_e64 v57, v52, v54, s[48:49]                  // 000000009594: D1000039 00C26D34
	v_perm_b32 v198, v57, v56, s52                             // 00000000959C: D1ED00C6 00D27139
	v_cmp_u_f32_e64 s[48:49], v206, v206                       // 0000000095A4: D0480030 00039DCE
	v_add3_u32 v52, v206, v55, 1                               // 0000000095AC: D1FF0034 02066FCE
	v_cndmask_b32_e64 v56, v52, v54, s[48:49]                  // 0000000095B4: D1000038 00C26D34
	v_cmp_u_f32_e64 s[48:49], v207, v207                       // 0000000095BC: D0480030 00039FCF
	v_add3_u32 v52, v207, v55, 1                               // 0000000095C4: D1FF0034 02066FCF
	v_cndmask_b32_e64 v57, v52, v54, s[48:49]                  // 0000000095CC: D1000039 00C26D34
	v_perm_b32 v199, v57, v56, s52                             // 0000000095D4: D1ED00C7 00D27139
	v_cmp_u_f32_e64 s[48:49], v208, v208                       // 0000000095DC: D0480030 0003A1D0
	v_add3_u32 v52, v208, v55, 1                               // 0000000095E4: D1FF0034 02066FD0
	v_cndmask_b32_e64 v56, v52, v54, s[48:49]                  // 0000000095EC: D1000038 00C26D34
	v_cmp_u_f32_e64 s[48:49], v209, v209                       // 0000000095F4: D0480030 0003A3D1
	v_add3_u32 v52, v209, v55, 1                               // 0000000095FC: D1FF0034 02066FD1
	v_cndmask_b32_e64 v57, v52, v54, s[48:49]                  // 000000009604: D1000039 00C26D34
	v_perm_b32 v200, v57, v56, s52                             // 00000000960C: D1ED00C8 00D27139
	v_cmp_u_f32_e64 s[48:49], v210, v210                       // 000000009614: D0480030 0003A5D2
	v_add3_u32 v52, v210, v55, 1                               // 00000000961C: D1FF0034 02066FD2
	v_cndmask_b32_e64 v56, v52, v54, s[48:49]                  // 000000009624: D1000038 00C26D34
	v_cmp_u_f32_e64 s[48:49], v211, v211                       // 00000000962C: D0480030 0003A7D3
	v_add3_u32 v52, v211, v55, 1                               // 000000009634: D1FF0034 02066FD3
	v_cndmask_b32_e64 v57, v52, v54, s[48:49]                  // 00000000963C: D1000039 00C26D34
	v_perm_b32 v201, v57, v56, s52                             // 000000009644: D1ED00C9 00D27139
	v_cmp_u_f32_e64 s[48:49], v212, v212                       // 00000000964C: D0480030 0003A9D4
	v_add3_u32 v52, v212, v55, 1                               // 000000009654: D1FF0034 02066FD4
	v_cndmask_b32_e64 v56, v52, v54, s[48:49]                  // 00000000965C: D1000038 00C26D34
	v_cmp_u_f32_e64 s[48:49], v213, v213                       // 000000009664: D0480030 0003ABD5
	v_add3_u32 v52, v213, v55, 1                               // 00000000966C: D1FF0034 02066FD5
	v_cndmask_b32_e64 v57, v52, v54, s[48:49]                  // 000000009674: D1000039 00C26D34
	v_perm_b32 v202, v57, v56, s52                             // 00000000967C: D1ED00CA 00D27139
	v_cmp_u_f32_e64 s[48:49], v214, v214                       // 000000009684: D0480030 0003ADD6
	v_add3_u32 v52, v214, v55, 1                               // 00000000968C: D1FF0034 02066FD6
	v_cndmask_b32_e64 v56, v52, v54, s[48:49]                  // 000000009694: D1000038 00C26D34
	v_cmp_u_f32_e64 s[48:49], v215, v215                       // 00000000969C: D0480030 0003AFD7
	v_add3_u32 v52, v215, v55, 1                               // 0000000096A4: D1FF0034 02066FD7
	v_cndmask_b32_e64 v57, v52, v54, s[48:49]                  // 0000000096AC: D1000039 00C26D34
	v_perm_b32 v203, v57, v56, s52                             // 0000000096B4: D1ED00CB 00D27139
	v_cmp_u_f32_e64 s[48:49], v216, v216                       // 0000000096BC: D0480030 0003B1D8
	v_add3_u32 v52, v216, v55, 1                               // 0000000096C4: D1FF0034 02066FD8
	v_cndmask_b32_e64 v56, v52, v54, s[48:49]                  // 0000000096CC: D1000038 00C26D34
	v_cmp_u_f32_e64 s[48:49], v217, v217                       // 0000000096D4: D0480030 0003B3D9
	v_add3_u32 v52, v217, v55, 1                               // 0000000096DC: D1FF0034 02066FD9
	v_cndmask_b32_e64 v57, v52, v54, s[48:49]                  // 0000000096E4: D1000039 00C26D34
	v_perm_b32 v204, v57, v56, s52                             // 0000000096EC: D1ED00CC 00D27139
	v_cmp_u_f32_e64 s[48:49], v218, v218                       // 0000000096F4: D0480030 0003B5DA
	v_add3_u32 v52, v218, v55, 1                               // 0000000096FC: D1FF0034 02066FDA
	v_cndmask_b32_e64 v56, v52, v54, s[48:49]                  // 000000009704: D1000038 00C26D34
	v_cmp_u_f32_e64 s[48:49], v219, v219                       // 00000000970C: D0480030 0003B7DB
	v_add3_u32 v52, v219, v55, 1                               // 000000009714: D1FF0034 02066FDB
	v_cndmask_b32_e64 v57, v52, v54, s[48:49]                  // 00000000971C: D1000039 00C26D34
	v_perm_b32 v205, v57, v56, s52                             // 000000009724: D1ED00CD 00D27139
	v_cmp_u_f32_e64 s[48:49], v220, v220                       // 00000000972C: D0480030 0003B9DC
	v_add3_u32 v52, v220, v55, 1                               // 000000009734: D1FF0034 02066FDC
	v_cndmask_b32_e64 v56, v52, v54, s[48:49]                  // 00000000973C: D1000038 00C26D34
	v_cmp_u_f32_e64 s[48:49], v221, v221                       // 000000009744: D0480030 0003BBDD
	v_add3_u32 v52, v221, v55, 1                               // 00000000974C: D1FF0034 02066FDD
	v_cndmask_b32_e64 v57, v52, v54, s[48:49]                  // 000000009754: D1000039 00C26D34
	v_perm_b32 v206, v57, v56, s52                             // 00000000975C: D1ED00CE 00D27139
	v_cmp_u_f32_e64 s[48:49], v222, v222                       // 000000009764: D0480030 0003BDDE
	v_add3_u32 v52, v222, v55, 1                               // 00000000976C: D1FF0034 02066FDE
	v_cndmask_b32_e64 v56, v52, v54, s[48:49]                  // 000000009774: D1000038 00C26D34
	v_cmp_u_f32_e64 s[48:49], v223, v223                       // 00000000977C: D0480030 0003BFDF
	v_add3_u32 v52, v223, v55, 1                               // 000000009784: D1FF0034 02066FDF
	v_cndmask_b32_e64 v57, v52, v54, s[48:49]                  // 00000000978C: D1000039 00C26D34
	v_perm_b32 v207, v57, v56, s52                             // 000000009794: D1ED00CF 00D27139
	s_cmp_ge_u32 s80, 0x200                                    // 00000000979C: BF09FF50 00000200
	s_cselect_b32 s59, 0x200, s59                              // 0000000097A4: 853B3BFF 00000200
	s_mov_b64 exec, s[20:21]                                   // 0000000097AC: BEFE0114
	global_atomic_pk_add_bf16 v80, v64, s[8:9]                 // 0000000097B0: DD488000 00084050
	s_mov_b64 exec, s[36:37]                                   // 0000000097B8: BEFE0124
	s_mov_b64 exec, s[20:21]                                   // 0000000097BC: BEFE0114
	global_atomic_pk_add_bf16 v80, v65, s[8:9] offset:256      // 0000000097C0: DD488100 00084150
	s_mov_b64 exec, s[36:37]                                   // 0000000097C8: BEFE0124
	s_mov_b64 exec, s[22:23]                                   // 0000000097CC: BEFE0116
	global_atomic_pk_add_bf16 v82, v66, s[8:9]                 // 0000000097D0: DD488000 00084252
	s_mov_b64 exec, s[36:37]                                   // 0000000097D8: BEFE0124
	s_mov_b64 exec, s[22:23]                                   // 0000000097DC: BEFE0116
	global_atomic_pk_add_bf16 v82, v67, s[8:9] offset:256      // 0000000097E0: DD488100 00084352
	s_mov_b64 exec, s[36:37]                                   // 0000000097E8: BEFE0124
	s_mov_b64 exec, s[24:25]                                   // 0000000097EC: BEFE0118
	global_atomic_pk_add_bf16 v84, v68, s[8:9]                 // 0000000097F0: DD488000 00084454
	s_mov_b64 exec, s[36:37]                                   // 0000000097F8: BEFE0124
	s_mov_b64 exec, s[24:25]                                   // 0000000097FC: BEFE0118
	global_atomic_pk_add_bf16 v84, v69, s[8:9] offset:256      // 000000009800: DD488100 00084554
	s_mov_b64 exec, s[36:37]                                   // 000000009808: BEFE0124
	s_mov_b64 exec, s[26:27]                                   // 00000000980C: BEFE011A
	global_atomic_pk_add_bf16 v86, v70, s[8:9]                 // 000000009810: DD488000 00084656
	s_mov_b64 exec, s[36:37]                                   // 000000009818: BEFE0124
	s_mov_b64 exec, s[26:27]                                   // 00000000981C: BEFE011A
	global_atomic_pk_add_bf16 v86, v71, s[8:9] offset:256      // 000000009820: DD488100 00084756
	s_mov_b64 exec, s[36:37]                                   // 000000009828: BEFE0124
	s_mov_b64 exec, s[28:29]                                   // 00000000982C: BEFE011C
	global_atomic_pk_add_bf16 v88, v72, s[8:9]                 // 000000009830: DD488000 00084858
	s_mov_b64 exec, s[36:37]                                   // 000000009838: BEFE0124
	s_mov_b64 exec, s[28:29]                                   // 00000000983C: BEFE011C
	global_atomic_pk_add_bf16 v88, v73, s[8:9] offset:256      // 000000009840: DD488100 00084958
	s_mov_b64 exec, s[36:37]                                   // 000000009848: BEFE0124
	s_mov_b64 exec, s[30:31]                                   // 00000000984C: BEFE011E
	global_atomic_pk_add_bf16 v90, v74, s[8:9]                 // 000000009850: DD488000 00084A5A
	s_mov_b64 exec, s[36:37]                                   // 000000009858: BEFE0124
	s_mov_b64 exec, s[30:31]                                   // 00000000985C: BEFE011E
	global_atomic_pk_add_bf16 v90, v75, s[8:9] offset:256      // 000000009860: DD488100 00084B5A
	s_mov_b64 exec, s[36:37]                                   // 000000009868: BEFE0124
	s_mov_b64 exec, s[32:33]                                   // 00000000986C: BEFE0120
	global_atomic_pk_add_bf16 v92, v76, s[8:9]                 // 000000009870: DD488000 00084C5C
	s_mov_b64 exec, s[36:37]                                   // 000000009878: BEFE0124
	s_mov_b64 exec, s[32:33]                                   // 00000000987C: BEFE0120
	global_atomic_pk_add_bf16 v92, v77, s[8:9] offset:256      // 000000009880: DD488100 00084D5C
	s_mov_b64 exec, s[36:37]                                   // 000000009888: BEFE0124
	s_mov_b64 exec, s[34:35]                                   // 00000000988C: BEFE0122
	global_atomic_pk_add_bf16 v94, v78, s[8:9]                 // 000000009890: DD488000 00084E5E
	s_mov_b64 exec, s[36:37]                                   // 000000009898: BEFE0124
	s_mov_b64 exec, s[34:35]                                   // 00000000989C: BEFE0122
	global_atomic_pk_add_bf16 v94, v79, s[8:9] offset:256      // 0000000098A0: DD488100 00084F5E
	s_mov_b64 exec, s[36:37]                                   // 0000000098A8: BEFE0124
	s_add_u32 s8, s59, s8                                      // 0000000098AC: 8008083B
	s_addc_u32 s9, 0, s9                                       // 0000000098B0: 82090980
	s_addk_i32 s80, 0x100                                      // 0000000098B4: B7500100
	s_cmp_lt_i32 s80, s81                                      // 0000000098B8: BF045150
	s_cbranch_scc0 label_1015                                  // 0000000098BC: BF84F565
	s_waitcnt vmcnt(28) lgkmcnt(0)                             // 0000000098C0: BF8C407C
	s_barrier                                                  // 0000000098C4: BF8A0000
	v_mfma_f32_16x16x32_fp8_fp8 v[224:227], a[64:65], v[128:129], 0// 0000000098C8: D3F300E0 0A030140
	buffer_load_dwordx4 a[0:3], v48, s[12:15], 0 offen         // 0000000098D0: E05C1000 80830030
	v_mfma_f32_16x16x32_fp8_fp8 v[224:227], a[66:67], v[130:131], v[224:227]// 0000000098D8: D3F300E0 0F830542
	ds_read_b32 v64, v5 offset:38144                           // 0000000098E0: D86C9500 40000005
	ds_read_b32 v65, v5 offset:42496                           // 0000000098E8: D86CA600 41000005
	v_mfma_f32_16x16x32_fp8_fp8 v[228:231], a[64:65], v[144:145], 0// 0000000098F0: D3F300E4 0A032140
	buffer_load_dword v23, v6, s[16:19], 0 offen               // 0000000098F8: E0501000 80041706
	v_mfma_f32_16x16x32_fp8_fp8 v[228:231], a[66:67], v[146:147], v[228:231]// 000000009900: D3F300E4 0F932542
	ds_read_b32 v66, v5 offset:38176                           // 000000009908: D86C9520 42000005
	ds_read_b32 v67, v5 offset:42528                           // 000000009910: D86CA620 43000005
	v_mfma_f32_16x16x32_fp8_fp8 v[232:235], a[68:69], v[128:129], 0// 000000009918: D3F300E8 0A030144
	buffer_load_dwordx4 a[4:7], v49, s[12:15], 0 offen         // 000000009920: E05C1000 80830431
	v_mfma_f32_16x16x32_fp8_fp8 v[232:235], a[70:71], v[130:131], v[232:235]// 000000009928: D3F300E8 0FA30546
	ds_read_b32 v68, v5 offset:38208                           // 000000009930: D86C9540 44000005
	ds_read_b32 v69, v5 offset:42560                           // 000000009938: D86CA640 45000005
	v_mfma_f32_16x16x32_fp8_fp8 v[236:239], a[68:69], v[144:145], 0// 000000009940: D3F300EC 0A032144
	v_mfma_f32_16x16x32_fp8_fp8 v[236:239], a[70:71], v[146:147], v[236:239]// 000000009948: D3F300EC 0FB32546
	ds_read_b32 v70, v5 offset:38240                           // 000000009950: D86C9560 46000005
	ds_read_b32 v71, v5 offset:42592                           // 000000009958: D86CA660 47000005
	v_mfma_f32_16x16x32_fp8_fp8 v[240:243], a[72:73], v[128:129], 0// 000000009960: D3F300F0 0A030148
	buffer_load_dwordx4 a[8:11], v50, s[12:15], 0 offen        // 000000009968: E05C1000 80830832
	v_mfma_f32_16x16x32_fp8_fp8 v[240:243], a[74:75], v[130:131], v[240:243]// 000000009970: D3F300F0 0FC3054A
	ds_read_b32 v72, v5 offset:46848                           // 000000009978: D86CB700 48000005
	ds_read_b32 v73, v5 offset:51200                           // 000000009980: D86CC800 49000005
	v_mfma_f32_16x16x32_fp8_fp8 v[244:247], a[72:73], v[144:145], 0// 000000009988: D3F300F4 0A032148
	v_mfma_f32_16x16x32_fp8_fp8 v[244:247], a[74:75], v[146:147], v[244:247]// 000000009990: D3F300F4 0FD3254A
	ds_read_b32 v74, v5 offset:46880                           // 000000009998: D86CB720 4A000005
	ds_read_b32 v75, v5 offset:51232                           // 0000000099A0: D86CC820 4B000005
	v_mfma_f32_16x16x32_fp8_fp8 v[248:251], a[76:77], v[128:129], 0// 0000000099A8: D3F300F8 0A03014C
	buffer_load_dwordx4 a[12:15], v51, s[12:15], 0 offen       // 0000000099B0: E05C1000 80830C33
	s_add_u32 s12, s78, s12                                    // 0000000099B8: 800C0C4E
	s_addc_u32 s13, 0, s13                                     // 0000000099BC: 820D0D80
	v_mfma_f32_16x16x32_fp8_fp8 v[248:251], a[78:79], v[130:131], v[248:251]// 0000000099C0: D3F300F8 0FE3054E
	ds_read_b32 v76, v5 offset:46912                           // 0000000099C8: D86CB740 4C000005
	ds_read_b32 v77, v5 offset:51264                           // 0000000099D0: D86CC840 4D000005
	v_mfma_f32_16x16x32_fp8_fp8 v[252:255], a[76:77], v[144:145], 0// 0000000099D8: D3F300FC 0A03214C
	v_mfma_f32_16x16x32_fp8_fp8 v[252:255], a[78:79], v[146:147], v[252:255]// 0000000099E0: D3F300FC 0FF3254E
	ds_read_b32 v78, v5 offset:46944                           // 0000000099E8: D86CB760 4E000005
	ds_read_b32 v79, v5 offset:51296                           // 0000000099F0: D86CC860 4F000005
	s_waitcnt vmcnt(29)                                        // 0000000099F8: BF8C4F7D
	v_mfma_f32_16x16x32_fp8_fp8 v[224:227], a[80:81], v[132:133], v[224:227]// 0000000099FC: D3F300E0 0F830950
	buffer_load_dwordx4 a[16:19], v48, s[12:15], 0 offen       // 000000009A04: E05C1000 80831030
	v_mfma_f32_16x16x32_fp8_fp8 v[224:227], a[82:83], v[134:135], v[224:227]// 000000009A0C: D3F300E0 0F830D52
	v_mfma_f32_16x16x32_fp8_fp8 v[228:231], a[80:81], v[148:149], v[228:231]// 000000009A14: D3F300E4 0F932950
	v_mfma_f32_16x16x32_fp8_fp8 v[228:231], a[82:83], v[150:151], v[228:231]// 000000009A1C: D3F300E4 0F932D52
	v_mfma_f32_16x16x32_fp8_fp8 v[232:235], a[84:85], v[132:133], v[232:235]// 000000009A24: D3F300E8 0FA30954
	buffer_load_dwordx4 a[20:23], v49, s[12:15], 0 offen       // 000000009A2C: E05C1000 80831431
	v_mfma_f32_16x16x32_fp8_fp8 v[232:235], a[86:87], v[134:135], v[232:235]// 000000009A34: D3F300E8 0FA30D56
	v_mfma_f32_16x16x32_fp8_fp8 v[236:239], a[84:85], v[148:149], v[236:239]// 000000009A3C: D3F300EC 0FB32954
	v_mfma_f32_16x16x32_fp8_fp8 v[236:239], a[86:87], v[150:151], v[236:239]// 000000009A44: D3F300EC 0FB32D56
	v_mfma_f32_16x16x32_fp8_fp8 v[240:243], a[88:89], v[132:133], v[240:243]// 000000009A4C: D3F300F0 0FC30958
	buffer_load_dwordx4 a[24:27], v50, s[12:15], 0 offen       // 000000009A54: E05C1000 80831832
	v_mfma_f32_16x16x32_fp8_fp8 v[240:243], a[90:91], v[134:135], v[240:243]// 000000009A5C: D3F300F0 0FC30D5A
	v_mfma_f32_16x16x32_fp8_fp8 v[244:247], a[88:89], v[148:149], v[244:247]// 000000009A64: D3F300F4 0FD32958
	v_mfma_f32_16x16x32_fp8_fp8 v[244:247], a[90:91], v[150:151], v[244:247]// 000000009A6C: D3F300F4 0FD32D5A
	v_mfma_f32_16x16x32_fp8_fp8 v[248:251], a[92:93], v[132:133], v[248:251]// 000000009A74: D3F300F8 0FE3095C
	buffer_load_dwordx4 a[28:31], v51, s[12:15], 0 offen       // 000000009A7C: E05C1000 80831C33
	s_add_u32 s12, s78, s12                                    // 000000009A84: 800C0C4E
	s_addc_u32 s13, 0, s13                                     // 000000009A88: 820D0D80
	v_mfma_f32_16x16x32_fp8_fp8 v[248:251], a[94:95], v[134:135], v[248:251]// 000000009A8C: D3F300F8 0FE30D5E
	v_mfma_f32_16x16x32_fp8_fp8 v[252:255], a[92:93], v[148:149], v[252:255]// 000000009A94: D3F300FC 0FF3295C
	v_mfma_f32_16x16x32_fp8_fp8 v[252:255], a[94:95], v[150:151], v[252:255]// 000000009A9C: D3F300FC 0FF32D5E
	v_mul_f32_dpp v56, v24, v32 row_newbcast:0 row_mask:0xf bank_mask:0xf// 000000009AA4: 0A7040FA FF015018
	v_mov_b32_e32 v57, v56                                     // 000000009AAC: 7E720338
	v_pk_mul_f32 v[224:225], v[56:57], v[224:225]              // 000000009AB0: D3B140E0 1803C138
	v_pk_mul_f32 v[226:227], v[56:57], v[226:227]              // 000000009AB8: D3B140E2 1803C538
	v_pk_mul_f32 v[232:233], v[56:57], v[232:233]              // 000000009AC0: D3B140E8 1803D138
	v_pk_mul_f32 v[234:235], v[56:57], v[234:235]              // 000000009AC8: D3B140EA 1803D538
	v_mul_f32_dpp v56, v24, v32 row_newbcast:1 row_mask:0xf bank_mask:0xf// 000000009AD0: 0A7040FA FF015118
	v_mov_b32_e32 v57, v56                                     // 000000009AD8: 7E720338
	v_pk_mul_f32 v[240:241], v[56:57], v[240:241]              // 000000009ADC: D3B140F0 1803E138
	v_pk_mul_f32 v[242:243], v[56:57], v[242:243]              // 000000009AE4: D3B140F2 1803E538
	v_pk_mul_f32 v[248:249], v[56:57], v[248:249]              // 000000009AEC: D3B140F8 1803F138
	v_pk_mul_f32 v[250:251], v[56:57], v[250:251]              // 000000009AF4: D3B140FA 1803F538
	v_mul_f32_dpp v56, v24, v33 row_newbcast:0 row_mask:0xf bank_mask:0xf// 000000009AFC: 0A7042FA FF015018
	v_mov_b32_e32 v57, v56                                     // 000000009B04: 7E720338
	v_pk_mul_f32 v[228:229], v[56:57], v[228:229]              // 000000009B08: D3B140E4 1803C938
	v_pk_mul_f32 v[230:231], v[56:57], v[230:231]              // 000000009B10: D3B140E6 1803CD38
	v_pk_mul_f32 v[236:237], v[56:57], v[236:237]              // 000000009B18: D3B140EC 1803D938
	v_pk_mul_f32 v[238:239], v[56:57], v[238:239]              // 000000009B20: D3B140EE 1803DD38
	v_mul_f32_dpp v56, v24, v33 row_newbcast:1 row_mask:0xf bank_mask:0xf// 000000009B28: 0A7042FA FF015118
	v_mov_b32_e32 v57, v56                                     // 000000009B30: 7E720338
	v_pk_mul_f32 v[244:245], v[56:57], v[244:245]              // 000000009B34: D3B140F4 1803E938
	v_pk_mul_f32 v[246:247], v[56:57], v[246:247]              // 000000009B3C: D3B140F6 1803ED38
	v_pk_mul_f32 v[252:253], v[56:57], v[252:253]              // 000000009B44: D3B140FC 1803F938
	v_pk_mul_f32 v[254:255], v[56:57], v[254:255]              // 000000009B4C: D3B140FE 1803FD38
	s_waitcnt vmcnt(29)                                        // 000000009B54: BF8C4F7D
	v_mfma_f32_16x16x32_fp8_fp8 v[160:163], a[96:97], v[136:137], 0// 000000009B58: D3F300A0 0A031160
	buffer_load_dwordx4 a[32:35], v48, s[12:15], 0 offen       // 000000009B60: E05C1000 80832030
	v_mfma_f32_16x16x32_fp8_fp8 v[160:163], a[98:99], v[138:139], v[160:163]// 000000009B68: D3F300A0 0E831562
	ds_write_b64 v4, v[192:193] offset:20736                   // 000000009B70: D89A5100 0000C004
	v_mfma_f32_16x16x32_fp8_fp8 v[164:167], a[96:97], v[152:153], 0// 000000009B78: D3F300A4 0A033160
	v_mfma_f32_16x16x32_fp8_fp8 v[164:167], a[98:99], v[154:155], v[164:167]// 000000009B80: D3F300A4 0E933562
	ds_write_b64 v4, v[194:195] offset:29440                   // 000000009B88: D89A7300 0000C204
	v_mfma_f32_16x16x32_fp8_fp8 v[168:171], a[100:101], v[136:137], 0// 000000009B90: D3F300A8 0A031164
	buffer_load_dwordx4 a[36:39], v49, s[12:15], 0 offen       // 000000009B98: E05C1000 80832431
	v_mfma_f32_16x16x32_fp8_fp8 v[168:171], a[102:103], v[138:139], v[168:171]// 000000009BA0: D3F300A8 0EA31566
	ds_write_b64 v4, v[196:197] offset:22912                   // 000000009BA8: D89A5980 0000C404
	v_mfma_f32_16x16x32_fp8_fp8 v[172:175], a[100:101], v[152:153], 0// 000000009BB0: D3F300AC 0A033164
	v_mfma_f32_16x16x32_fp8_fp8 v[172:175], a[102:103], v[154:155], v[172:175]// 000000009BB8: D3F300AC 0EB33566
	ds_write_b64 v4, v[198:199] offset:31616                   // 000000009BC0: D89A7B80 0000C604
	v_mfma_f32_16x16x32_fp8_fp8 v[176:179], a[104:105], v[136:137], 0// 000000009BC8: D3F300B0 0A031168
	buffer_load_dwordx4 a[40:43], v50, s[12:15], 0 offen       // 000000009BD0: E05C1000 80832832
	v_mfma_f32_16x16x32_fp8_fp8 v[176:179], a[106:107], v[138:139], v[176:179]// 000000009BD8: D3F300B0 0EC3156A
	ds_write_b64 v4, v[200:201] offset:25088                   // 000000009BE0: D89A6200 0000C804
	v_mfma_f32_16x16x32_fp8_fp8 v[180:183], a[104:105], v[152:153], 0// 000000009BE8: D3F300B4 0A033168
	v_mfma_f32_16x16x32_fp8_fp8 v[180:183], a[106:107], v[154:155], v[180:183]// 000000009BF0: D3F300B4 0ED3356A
	ds_write_b64 v4, v[202:203] offset:33792                   // 000000009BF8: D89A8400 0000CA04
	v_mfma_f32_16x16x32_fp8_fp8 v[184:187], a[108:109], v[136:137], 0// 000000009C00: D3F300B8 0A03116C
	buffer_load_dwordx4 a[44:47], v51, s[12:15], 0 offen       // 000000009C08: E05C1000 80832C33
	s_add_u32 s12, s78, s12                                    // 000000009C10: 800C0C4E
	s_addc_u32 s13, 0, s13                                     // 000000009C14: 820D0D80
	v_mfma_f32_16x16x32_fp8_fp8 v[184:187], a[110:111], v[138:139], v[184:187]// 000000009C18: D3F300B8 0EE3156E
	ds_write_b64 v4, v[204:205] offset:27264                   // 000000009C20: D89A6A80 0000CC04
	v_mfma_f32_16x16x32_fp8_fp8 v[188:191], a[108:109], v[152:153], 0// 000000009C28: D3F300BC 0A03316C
	v_mfma_f32_16x16x32_fp8_fp8 v[188:191], a[110:111], v[154:155], v[188:191]// 000000009C30: D3F300BC 0EF3356E
	ds_write_b64 v4, v[206:207] offset:35968                   // 000000009C38: D89A8C80 0000CE04
	s_waitcnt vmcnt(29)                                        // 000000009C40: BF8C4F7D
	v_mfma_f32_16x16x32_fp8_fp8 v[160:163], a[112:113], v[140:141], v[160:163]// 000000009C44: D3F300A0 0E831970
	buffer_load_dwordx4 a[48:51], v48, s[12:15], 0 offen       // 000000009C4C: E05C1000 80833030
	v_mfma_f32_16x16x32_fp8_fp8 v[160:163], a[114:115], v[142:143], v[160:163]// 000000009C54: D3F300A0 0E831D72
	v_mfma_f32_16x16x32_fp8_fp8 v[164:167], a[112:113], v[156:157], v[164:167]// 000000009C5C: D3F300A4 0E933970
	v_mfma_f32_16x16x32_fp8_fp8 v[164:167], a[114:115], v[158:159], v[164:167]// 000000009C64: D3F300A4 0E933D72
	v_mfma_f32_16x16x32_fp8_fp8 v[168:171], a[116:117], v[140:141], v[168:171]// 000000009C6C: D3F300A8 0EA31974
	buffer_load_dwordx4 a[52:55], v49, s[12:15], 0 offen       // 000000009C74: E05C1000 80833431
	v_mfma_f32_16x16x32_fp8_fp8 v[168:171], a[118:119], v[142:143], v[168:171]// 000000009C7C: D3F300A8 0EA31D76
	v_mfma_f32_16x16x32_fp8_fp8 v[172:175], a[116:117], v[156:157], v[172:175]// 000000009C84: D3F300AC 0EB33974
	v_mfma_f32_16x16x32_fp8_fp8 v[172:175], a[118:119], v[158:159], v[172:175]// 000000009C8C: D3F300AC 0EB33D76
	v_mfma_f32_16x16x32_fp8_fp8 v[176:179], a[120:121], v[140:141], v[176:179]// 000000009C94: D3F300B0 0EC31978
	buffer_load_dwordx4 a[56:59], v50, s[12:15], 0 offen       // 000000009C9C: E05C1000 80833832
	v_mfma_f32_16x16x32_fp8_fp8 v[176:179], a[122:123], v[142:143], v[176:179]// 000000009CA4: D3F300B0 0EC31D7A
	v_mfma_f32_16x16x32_fp8_fp8 v[180:183], a[120:121], v[156:157], v[180:183]// 000000009CAC: D3F300B4 0ED33978
	v_mfma_f32_16x16x32_fp8_fp8 v[180:183], a[122:123], v[158:159], v[180:183]// 000000009CB4: D3F300B4 0ED33D7A
	v_mfma_f32_16x16x32_fp8_fp8 v[184:187], a[124:125], v[140:141], v[184:187]// 000000009CBC: D3F300B8 0EE3197C
	buffer_load_dwordx4 a[60:63], v51, s[12:15], 0 offen       // 000000009CC4: E05C1000 80833C33
	v_mfma_f32_16x16x32_fp8_fp8 v[184:187], a[126:127], v[142:143], v[184:187]// 000000009CCC: D3F300B8 0EE31D7E
	v_mfma_f32_16x16x32_fp8_fp8 v[188:191], a[124:125], v[156:157], v[188:191]// 000000009CD4: D3F300BC 0EF3397C
	v_mfma_f32_16x16x32_fp8_fp8 v[188:191], a[126:127], v[158:159], v[188:191]// 000000009CDC: D3F300BC 0EF33D7E
	v_mul_f32_dpp v56, v24, v34 row_newbcast:2 row_mask:0xf bank_mask:0xf// 000000009CE4: 0A7044FA FF015218
	v_mov_b32_e32 v57, v56                                     // 000000009CEC: 7E720338
	v_pk_fma_f32 v[224:225], v[160:161], v[56:57], v[224:225]  // 000000009CF0: D3B040E0 1F8271A0
	v_pk_fma_f32 v[226:227], v[162:163], v[56:57], v[226:227]  // 000000009CF8: D3B040E2 1F8A71A2
	v_pk_fma_f32 v[232:233], v[168:169], v[56:57], v[232:233]  // 000000009D00: D3B040E8 1FA271A8
	v_pk_fma_f32 v[234:235], v[170:171], v[56:57], v[234:235]  // 000000009D08: D3B040EA 1FAA71AA
	v_mul_f32_dpp v56, v24, v34 row_newbcast:3 row_mask:0xf bank_mask:0xf// 000000009D10: 0A7044FA FF015318
	v_mov_b32_e32 v57, v56                                     // 000000009D18: 7E720338
	v_pk_fma_f32 v[240:241], v[176:177], v[56:57], v[240:241]  // 000000009D1C: D3B040F0 1FC271B0
	v_pk_fma_f32 v[242:243], v[178:179], v[56:57], v[242:243]  // 000000009D24: D3B040F2 1FCA71B2
	v_pk_fma_f32 v[248:249], v[184:185], v[56:57], v[248:249]  // 000000009D2C: D3B040F8 1FE271B8
	v_pk_fma_f32 v[250:251], v[186:187], v[56:57], v[250:251]  // 000000009D34: D3B040FA 1FEA71BA
	v_mul_f32_dpp v56, v24, v35 row_newbcast:2 row_mask:0xf bank_mask:0xf// 000000009D3C: 0A7046FA FF015218
	v_mov_b32_e32 v57, v56                                     // 000000009D44: 7E720338
	v_pk_fma_f32 v[228:229], v[164:165], v[56:57], v[228:229]  // 000000009D48: D3B040E4 1F9271A4
	v_pk_fma_f32 v[230:231], v[166:167], v[56:57], v[230:231]  // 000000009D50: D3B040E6 1F9A71A6
	v_pk_fma_f32 v[236:237], v[172:173], v[56:57], v[236:237]  // 000000009D58: D3B040EC 1FB271AC
	v_pk_fma_f32 v[238:239], v[174:175], v[56:57], v[238:239]  // 000000009D60: D3B040EE 1FBA71AE
	v_mul_f32_dpp v56, v24, v35 row_newbcast:3 row_mask:0xf bank_mask:0xf// 000000009D68: 0A7046FA FF015318
	v_mov_b32_e32 v57, v56                                     // 000000009D70: 7E720338
	v_pk_fma_f32 v[244:245], v[180:181], v[56:57], v[244:245]  // 000000009D74: D3B040F4 1FD271B4
	v_pk_fma_f32 v[246:247], v[182:183], v[56:57], v[246:247]  // 000000009D7C: D3B040F6 1FDA71B6
	v_pk_fma_f32 v[252:253], v[188:189], v[56:57], v[252:253]  // 000000009D84: D3B040FC 1FF271BC
	v_pk_fma_f32 v[254:255], v[190:191], v[56:57], v[254:255]  // 000000009D8C: D3B040FE 1FFA71BE
	s_add_u32 s60, 0x200, s80                                  // 000000009D94: 803C50FF 00000200
	s_cmp_lt_u32 s60, s81                                      // 000000009D9C: BF0A513C
	s_cselect_b32 s56, s56, 0                                  // 000000009DA0: 85388038
	s_cselect_b32 s78, s78, 0                                  // 000000009DA4: 854E804E
	s_cselect_b32 s79, s79, 0                                  // 000000009DA8: 854F804F
	s_add_u32 s12, s56, s12                                    // 000000009DAC: 800C0C38
	s_addc_u32 s13, 0, s13                                     // 000000009DB0: 820D0D80
	s_add_u32 s16, s79, s16                                    // 000000009DB4: 8010104F
	s_addc_u32 s17, 0, s17                                     // 000000009DB8: 82111180
	v_mov_b32_e32 v56, v25                                     // 000000009DBC: 7E700319
	v_mov_b32_e32 v57, v25                                     // 000000009DC0: 7E720319
	v_pk_mul_f32 v[224:225], v[56:57], v[224:225]              // 000000009DC4: D3B140E0 1803C138
	v_pk_mul_f32 v[226:227], v[56:57], v[226:227]              // 000000009DCC: D3B140E2 1803C538
	v_pk_mul_f32 v[232:233], v[56:57], v[232:233]              // 000000009DD4: D3B140E8 1803D138
	v_pk_mul_f32 v[234:235], v[56:57], v[234:235]              // 000000009DDC: D3B140EA 1803D538
	v_pk_mul_f32 v[240:241], v[56:57], v[240:241]              // 000000009DE4: D3B140F0 1803E138
	v_pk_mul_f32 v[242:243], v[56:57], v[242:243]              // 000000009DEC: D3B140F2 1803E538
	v_pk_mul_f32 v[248:249], v[56:57], v[248:249]              // 000000009DF4: D3B140F8 1803F138
	v_pk_mul_f32 v[250:251], v[56:57], v[250:251]              // 000000009DFC: D3B140FA 1803F538
	v_mov_b32_e32 v56, v26                                     // 000000009E04: 7E70031A
	v_mov_b32_e32 v57, v26                                     // 000000009E08: 7E72031A
	v_pk_mul_f32 v[228:229], v[56:57], v[228:229]              // 000000009E0C: D3B140E4 1803C938
	v_pk_mul_f32 v[230:231], v[56:57], v[230:231]              // 000000009E14: D3B140E6 1803CD38
	v_pk_mul_f32 v[236:237], v[56:57], v[236:237]              // 000000009E1C: D3B140EC 1803D938
	v_pk_mul_f32 v[238:239], v[56:57], v[238:239]              // 000000009E24: D3B140EE 1803DD38
	v_pk_mul_f32 v[244:245], v[56:57], v[244:245]              // 000000009E2C: D3B140F4 1803E938
	v_pk_mul_f32 v[246:247], v[56:57], v[246:247]              // 000000009E34: D3B140F6 1803ED38
	v_pk_mul_f32 v[252:253], v[56:57], v[252:253]              // 000000009E3C: D3B140FC 1803F938
	v_pk_mul_f32 v[254:255], v[56:57], v[254:255]              // 000000009E44: D3B140FE 1803FD38
	v_cmp_u_f32_e64 s[48:49], v224, v224                       // 000000009E4C: D0480030 0003C1E0
	v_add3_u32 v52, v224, v55, 1                               // 000000009E54: D1FF0034 02066FE0
	v_cndmask_b32_e64 v56, v52, v54, s[48:49]                  // 000000009E5C: D1000038 00C26D34
	v_cmp_u_f32_e64 s[48:49], v225, v225                       // 000000009E64: D0480030 0003C3E1
	v_add3_u32 v52, v225, v55, 1                               // 000000009E6C: D1FF0034 02066FE1
	v_cndmask_b32_e64 v57, v52, v54, s[48:49]                  // 000000009E74: D1000039 00C26D34
	v_perm_b32 v224, v57, v56, s52                             // 000000009E7C: D1ED00E0 00D27139
	v_cmp_u_f32_e64 s[48:49], v226, v226                       // 000000009E84: D0480030 0003C5E2
	v_add3_u32 v52, v226, v55, 1                               // 000000009E8C: D1FF0034 02066FE2
	v_cndmask_b32_e64 v56, v52, v54, s[48:49]                  // 000000009E94: D1000038 00C26D34
	v_cmp_u_f32_e64 s[48:49], v227, v227                       // 000000009E9C: D0480030 0003C7E3
	v_add3_u32 v52, v227, v55, 1                               // 000000009EA4: D1FF0034 02066FE3
	v_cndmask_b32_e64 v57, v52, v54, s[48:49]                  // 000000009EAC: D1000039 00C26D34
	v_perm_b32 v225, v57, v56, s52                             // 000000009EB4: D1ED00E1 00D27139
	v_cmp_u_f32_e64 s[48:49], v228, v228                       // 000000009EBC: D0480030 0003C9E4
	v_add3_u32 v52, v228, v55, 1                               // 000000009EC4: D1FF0034 02066FE4
	v_cndmask_b32_e64 v56, v52, v54, s[48:49]                  // 000000009ECC: D1000038 00C26D34
	v_cmp_u_f32_e64 s[48:49], v229, v229                       // 000000009ED4: D0480030 0003CBE5
	v_add3_u32 v52, v229, v55, 1                               // 000000009EDC: D1FF0034 02066FE5
	v_cndmask_b32_e64 v57, v52, v54, s[48:49]                  // 000000009EE4: D1000039 00C26D34
	v_perm_b32 v226, v57, v56, s52                             // 000000009EEC: D1ED00E2 00D27139
	v_cmp_u_f32_e64 s[48:49], v230, v230                       // 000000009EF4: D0480030 0003CDE6
	v_add3_u32 v52, v230, v55, 1                               // 000000009EFC: D1FF0034 02066FE6
	v_cndmask_b32_e64 v56, v52, v54, s[48:49]                  // 000000009F04: D1000038 00C26D34
	v_cmp_u_f32_e64 s[48:49], v231, v231                       // 000000009F0C: D0480030 0003CFE7
	v_add3_u32 v52, v231, v55, 1                               // 000000009F14: D1FF0034 02066FE7
	v_cndmask_b32_e64 v57, v52, v54, s[48:49]                  // 000000009F1C: D1000039 00C26D34
	v_perm_b32 v227, v57, v56, s52                             // 000000009F24: D1ED00E3 00D27139
	v_cmp_u_f32_e64 s[48:49], v232, v232                       // 000000009F2C: D0480030 0003D1E8
	v_add3_u32 v52, v232, v55, 1                               // 000000009F34: D1FF0034 02066FE8
	v_cndmask_b32_e64 v56, v52, v54, s[48:49]                  // 000000009F3C: D1000038 00C26D34
	v_cmp_u_f32_e64 s[48:49], v233, v233                       // 000000009F44: D0480030 0003D3E9
	v_add3_u32 v52, v233, v55, 1                               // 000000009F4C: D1FF0034 02066FE9
	v_cndmask_b32_e64 v57, v52, v54, s[48:49]                  // 000000009F54: D1000039 00C26D34
	v_perm_b32 v228, v57, v56, s52                             // 000000009F5C: D1ED00E4 00D27139
	v_cmp_u_f32_e64 s[48:49], v234, v234                       // 000000009F64: D0480030 0003D5EA
	v_add3_u32 v52, v234, v55, 1                               // 000000009F6C: D1FF0034 02066FEA
	v_cndmask_b32_e64 v56, v52, v54, s[48:49]                  // 000000009F74: D1000038 00C26D34
	v_cmp_u_f32_e64 s[48:49], v235, v235                       // 000000009F7C: D0480030 0003D7EB
	v_add3_u32 v52, v235, v55, 1                               // 000000009F84: D1FF0034 02066FEB
	v_cndmask_b32_e64 v57, v52, v54, s[48:49]                  // 000000009F8C: D1000039 00C26D34
	v_perm_b32 v229, v57, v56, s52                             // 000000009F94: D1ED00E5 00D27139
	v_cmp_u_f32_e64 s[48:49], v236, v236                       // 000000009F9C: D0480030 0003D9EC
	v_add3_u32 v52, v236, v55, 1                               // 000000009FA4: D1FF0034 02066FEC
	v_cndmask_b32_e64 v56, v52, v54, s[48:49]                  // 000000009FAC: D1000038 00C26D34
	v_cmp_u_f32_e64 s[48:49], v237, v237                       // 000000009FB4: D0480030 0003DBED
	v_add3_u32 v52, v237, v55, 1                               // 000000009FBC: D1FF0034 02066FED
	v_cndmask_b32_e64 v57, v52, v54, s[48:49]                  // 000000009FC4: D1000039 00C26D34
	v_perm_b32 v230, v57, v56, s52                             // 000000009FCC: D1ED00E6 00D27139
	v_cmp_u_f32_e64 s[48:49], v238, v238                       // 000000009FD4: D0480030 0003DDEE
	v_add3_u32 v52, v238, v55, 1                               // 000000009FDC: D1FF0034 02066FEE
	v_cndmask_b32_e64 v56, v52, v54, s[48:49]                  // 000000009FE4: D1000038 00C26D34
	v_cmp_u_f32_e64 s[48:49], v239, v239                       // 000000009FEC: D0480030 0003DFEF
	v_add3_u32 v52, v239, v55, 1                               // 000000009FF4: D1FF0034 02066FEF
	v_cndmask_b32_e64 v57, v52, v54, s[48:49]                  // 000000009FFC: D1000039 00C26D34
	v_perm_b32 v231, v57, v56, s52                             // 00000000A004: D1ED00E7 00D27139
	v_cmp_u_f32_e64 s[48:49], v240, v240                       // 00000000A00C: D0480030 0003E1F0
	v_add3_u32 v52, v240, v55, 1                               // 00000000A014: D1FF0034 02066FF0
	v_cndmask_b32_e64 v56, v52, v54, s[48:49]                  // 00000000A01C: D1000038 00C26D34
	v_cmp_u_f32_e64 s[48:49], v241, v241                       // 00000000A024: D0480030 0003E3F1
	v_add3_u32 v52, v241, v55, 1                               // 00000000A02C: D1FF0034 02066FF1
	v_cndmask_b32_e64 v57, v52, v54, s[48:49]                  // 00000000A034: D1000039 00C26D34
	v_perm_b32 v232, v57, v56, s52                             // 00000000A03C: D1ED00E8 00D27139
	v_cmp_u_f32_e64 s[48:49], v242, v242                       // 00000000A044: D0480030 0003E5F2
	v_add3_u32 v52, v242, v55, 1                               // 00000000A04C: D1FF0034 02066FF2
	v_cndmask_b32_e64 v56, v52, v54, s[48:49]                  // 00000000A054: D1000038 00C26D34
	v_cmp_u_f32_e64 s[48:49], v243, v243                       // 00000000A05C: D0480030 0003E7F3
	v_add3_u32 v52, v243, v55, 1                               // 00000000A064: D1FF0034 02066FF3
	v_cndmask_b32_e64 v57, v52, v54, s[48:49]                  // 00000000A06C: D1000039 00C26D34
	v_perm_b32 v233, v57, v56, s52                             // 00000000A074: D1ED00E9 00D27139
	v_cmp_u_f32_e64 s[48:49], v244, v244                       // 00000000A07C: D0480030 0003E9F4
	v_add3_u32 v52, v244, v55, 1                               // 00000000A084: D1FF0034 02066FF4
	v_cndmask_b32_e64 v56, v52, v54, s[48:49]                  // 00000000A08C: D1000038 00C26D34
	v_cmp_u_f32_e64 s[48:49], v245, v245                       // 00000000A094: D0480030 0003EBF5
	v_add3_u32 v52, v245, v55, 1                               // 00000000A09C: D1FF0034 02066FF5
	v_cndmask_b32_e64 v57, v52, v54, s[48:49]                  // 00000000A0A4: D1000039 00C26D34
	v_perm_b32 v234, v57, v56, s52                             // 00000000A0AC: D1ED00EA 00D27139
	v_cmp_u_f32_e64 s[48:49], v246, v246                       // 00000000A0B4: D0480030 0003EDF6
	v_add3_u32 v52, v246, v55, 1                               // 00000000A0BC: D1FF0034 02066FF6
	v_cndmask_b32_e64 v56, v52, v54, s[48:49]                  // 00000000A0C4: D1000038 00C26D34
	v_cmp_u_f32_e64 s[48:49], v247, v247                       // 00000000A0CC: D0480030 0003EFF7
	v_add3_u32 v52, v247, v55, 1                               // 00000000A0D4: D1FF0034 02066FF7
	v_cndmask_b32_e64 v57, v52, v54, s[48:49]                  // 00000000A0DC: D1000039 00C26D34
	v_perm_b32 v235, v57, v56, s52                             // 00000000A0E4: D1ED00EB 00D27139
	v_cmp_u_f32_e64 s[48:49], v248, v248                       // 00000000A0EC: D0480030 0003F1F8
	v_add3_u32 v52, v248, v55, 1                               // 00000000A0F4: D1FF0034 02066FF8
	v_cndmask_b32_e64 v56, v52, v54, s[48:49]                  // 00000000A0FC: D1000038 00C26D34
	v_cmp_u_f32_e64 s[48:49], v249, v249                       // 00000000A104: D0480030 0003F3F9
	v_add3_u32 v52, v249, v55, 1                               // 00000000A10C: D1FF0034 02066FF9
	v_cndmask_b32_e64 v57, v52, v54, s[48:49]                  // 00000000A114: D1000039 00C26D34
	v_perm_b32 v236, v57, v56, s52                             // 00000000A11C: D1ED00EC 00D27139
	v_cmp_u_f32_e64 s[48:49], v250, v250                       // 00000000A124: D0480030 0003F5FA
	v_add3_u32 v52, v250, v55, 1                               // 00000000A12C: D1FF0034 02066FFA
	v_cndmask_b32_e64 v56, v52, v54, s[48:49]                  // 00000000A134: D1000038 00C26D34
	v_cmp_u_f32_e64 s[48:49], v251, v251                       // 00000000A13C: D0480030 0003F7FB
	v_add3_u32 v52, v251, v55, 1                               // 00000000A144: D1FF0034 02066FFB
	v_cndmask_b32_e64 v57, v52, v54, s[48:49]                  // 00000000A14C: D1000039 00C26D34
	v_perm_b32 v237, v57, v56, s52                             // 00000000A154: D1ED00ED 00D27139
	v_cmp_u_f32_e64 s[48:49], v252, v252                       // 00000000A15C: D0480030 0003F9FC
	v_add3_u32 v52, v252, v55, 1                               // 00000000A164: D1FF0034 02066FFC
	v_cndmask_b32_e64 v56, v52, v54, s[48:49]                  // 00000000A16C: D1000038 00C26D34
	v_cmp_u_f32_e64 s[48:49], v253, v253                       // 00000000A174: D0480030 0003FBFD
	v_add3_u32 v52, v253, v55, 1                               // 00000000A17C: D1FF0034 02066FFD
	v_cndmask_b32_e64 v57, v52, v54, s[48:49]                  // 00000000A184: D1000039 00C26D34
	v_perm_b32 v238, v57, v56, s52                             // 00000000A18C: D1ED00EE 00D27139
	v_cmp_u_f32_e64 s[48:49], v254, v254                       // 00000000A194: D0480030 0003FDFE
	v_add3_u32 v52, v254, v55, 1                               // 00000000A19C: D1FF0034 02066FFE
	v_cndmask_b32_e64 v56, v52, v54, s[48:49]                  // 00000000A1A4: D1000038 00C26D34
	v_cmp_u_f32_e64 s[48:49], v255, v255                       // 00000000A1AC: D0480030 0003FFFF
	v_add3_u32 v52, v255, v55, 1                               // 00000000A1B4: D1FF0034 02066FFF
	v_cndmask_b32_e64 v57, v52, v54, s[48:49]                  // 00000000A1BC: D1000039 00C26D34
	v_perm_b32 v239, v57, v56, s52                             // 00000000A1C4: D1ED00EF 00D27139
	s_cmp_ge_u32 s80, 0x200                                    // 00000000A1CC: BF09FF50 00000200
	s_cselect_b32 s59, 0x200, s59                              // 00000000A1D4: 853B3BFF 00000200
	s_mov_b64 exec, s[20:21]                                   // 00000000A1DC: BEFE0114
	global_atomic_pk_add_bf16 v80, v64, s[8:9]                 // 00000000A1E0: DD488000 00084050
	s_mov_b64 exec, s[36:37]                                   // 00000000A1E8: BEFE0124
	s_mov_b64 exec, s[20:21]                                   // 00000000A1EC: BEFE0114
	global_atomic_pk_add_bf16 v80, v65, s[8:9] offset:256      // 00000000A1F0: DD488100 00084150
	s_mov_b64 exec, s[36:37]                                   // 00000000A1F8: BEFE0124
	s_mov_b64 exec, s[22:23]                                   // 00000000A1FC: BEFE0116
	global_atomic_pk_add_bf16 v82, v66, s[8:9]                 // 00000000A200: DD488000 00084252
	s_mov_b64 exec, s[36:37]                                   // 00000000A208: BEFE0124
	s_mov_b64 exec, s[22:23]                                   // 00000000A20C: BEFE0116
	global_atomic_pk_add_bf16 v82, v67, s[8:9] offset:256      // 00000000A210: DD488100 00084352
	s_mov_b64 exec, s[36:37]                                   // 00000000A218: BEFE0124
	s_mov_b64 exec, s[24:25]                                   // 00000000A21C: BEFE0118
	global_atomic_pk_add_bf16 v84, v68, s[8:9]                 // 00000000A220: DD488000 00084454
	s_mov_b64 exec, s[36:37]                                   // 00000000A228: BEFE0124
	s_mov_b64 exec, s[24:25]                                   // 00000000A22C: BEFE0118
	global_atomic_pk_add_bf16 v84, v69, s[8:9] offset:256      // 00000000A230: DD488100 00084554
	s_mov_b64 exec, s[36:37]                                   // 00000000A238: BEFE0124
	s_mov_b64 exec, s[26:27]                                   // 00000000A23C: BEFE011A
	global_atomic_pk_add_bf16 v86, v70, s[8:9]                 // 00000000A240: DD488000 00084656
	s_mov_b64 exec, s[36:37]                                   // 00000000A248: BEFE0124
	s_mov_b64 exec, s[26:27]                                   // 00000000A24C: BEFE011A
	global_atomic_pk_add_bf16 v86, v71, s[8:9] offset:256      // 00000000A250: DD488100 00084756
	s_mov_b64 exec, s[36:37]                                   // 00000000A258: BEFE0124
	s_mov_b64 exec, s[28:29]                                   // 00000000A25C: BEFE011C
	global_atomic_pk_add_bf16 v88, v72, s[8:9]                 // 00000000A260: DD488000 00084858
	s_mov_b64 exec, s[36:37]                                   // 00000000A268: BEFE0124
	s_mov_b64 exec, s[28:29]                                   // 00000000A26C: BEFE011C
	global_atomic_pk_add_bf16 v88, v73, s[8:9] offset:256      // 00000000A270: DD488100 00084958
	s_mov_b64 exec, s[36:37]                                   // 00000000A278: BEFE0124
	s_mov_b64 exec, s[30:31]                                   // 00000000A27C: BEFE011E
	global_atomic_pk_add_bf16 v90, v74, s[8:9]                 // 00000000A280: DD488000 00084A5A
	s_mov_b64 exec, s[36:37]                                   // 00000000A288: BEFE0124
	s_mov_b64 exec, s[30:31]                                   // 00000000A28C: BEFE011E
	global_atomic_pk_add_bf16 v90, v75, s[8:9] offset:256      // 00000000A290: DD488100 00084B5A
	s_mov_b64 exec, s[36:37]                                   // 00000000A298: BEFE0124
	s_mov_b64 exec, s[32:33]                                   // 00000000A29C: BEFE0120
	global_atomic_pk_add_bf16 v92, v76, s[8:9]                 // 00000000A2A0: DD488000 00084C5C
	s_mov_b64 exec, s[36:37]                                   // 00000000A2A8: BEFE0124
	s_mov_b64 exec, s[32:33]                                   // 00000000A2AC: BEFE0120
	global_atomic_pk_add_bf16 v92, v77, s[8:9] offset:256      // 00000000A2B0: DD488100 00084D5C
	s_mov_b64 exec, s[36:37]                                   // 00000000A2B8: BEFE0124
	s_mov_b64 exec, s[34:35]                                   // 00000000A2BC: BEFE0122
	global_atomic_pk_add_bf16 v94, v78, s[8:9]                 // 00000000A2C0: DD488000 00084E5E
	s_mov_b64 exec, s[36:37]                                   // 00000000A2C8: BEFE0124
	s_mov_b64 exec, s[34:35]                                   // 00000000A2CC: BEFE0122
	global_atomic_pk_add_bf16 v94, v79, s[8:9] offset:256      // 00000000A2D0: DD488100 00084F5E
	s_mov_b64 exec, s[36:37]                                   // 00000000A2D8: BEFE0124
	s_add_u32 s8, s59, s8                                      // 00000000A2DC: 8008083B
	s_addc_u32 s9, 0, s9                                       // 00000000A2E0: 82090980
	s_addk_i32 s80, 0x100                                      // 00000000A2E4: B7500100
	s_cmp_lt_i32 s80, s81                                      // 00000000A2E8: BF045150
	s_cbranch_scc0 label_1015                                  // 00000000A2EC: BF84F2D9
	s_branch label_1824                                        // 00000000A2F0: BF82FAE7

000000000000a2f4 <label_1D3D>:
	s_cmp_ge_u32 s59, 0                                        // 00000000A2F4: BF09803B
	s_cselect_b32 s59, 0x200, s59                              // 00000000A2F8: 853B3BFF 00000200
	s_waitcnt lgkmcnt(0)                                       // 00000000A300: BF8CC07F
	s_barrier                                                  // 00000000A304: BF8A0000
	s_cmp_eq_u32 s64, 0x100                                    // 00000000A308: BF06FF40 00000100
	s_cbranch_scc0 label_1DB9                                  // 00000000A310: BF840074
	ds_write_b64 v4, v[192:193] offset:20736                   // 00000000A314: D89A5100 0000C004
	ds_write_b64 v4, v[194:195] offset:29440                   // 00000000A31C: D89A7300 0000C204
	ds_write_b64 v4, v[196:197] offset:22912                   // 00000000A324: D89A5980 0000C404
	ds_write_b64 v4, v[198:199] offset:31616                   // 00000000A32C: D89A7B80 0000C604
	ds_write_b64 v4, v[200:201] offset:25088                   // 00000000A334: D89A6200 0000C804
	ds_write_b64 v4, v[202:203] offset:33792                   // 00000000A33C: D89A8400 0000CA04
	ds_write_b64 v4, v[204:205] offset:27264                   // 00000000A344: D89A6A80 0000CC04
	ds_write_b64 v4, v[206:207] offset:35968                   // 00000000A34C: D89A8C80 0000CE04
	s_waitcnt lgkmcnt(0)                                       // 00000000A354: BF8CC07F
	s_barrier                                                  // 00000000A358: BF8A0000
	ds_read_b32 v64, v5 offset:20736                           // 00000000A35C: D86C5100 40000005
	ds_read_b32 v65, v5 offset:25088                           // 00000000A364: D86C6200 41000005
	ds_read_b32 v66, v5 offset:20768                           // 00000000A36C: D86C5120 42000005
	ds_read_b32 v67, v5 offset:25120                           // 00000000A374: D86C6220 43000005
	ds_read_b32 v68, v5 offset:20800                           // 00000000A37C: D86C5140 44000005
	ds_read_b32 v69, v5 offset:25152                           // 00000000A384: D86C6240 45000005
	ds_read_b32 v70, v5 offset:20832                           // 00000000A38C: D86C5160 46000005
	ds_read_b32 v71, v5 offset:25184                           // 00000000A394: D86C6260 47000005
	ds_read_b32 v72, v5 offset:29440                           // 00000000A39C: D86C7300 48000005
	ds_read_b32 v73, v5 offset:33792                           // 00000000A3A4: D86C8400 49000005
	ds_read_b32 v74, v5 offset:29472                           // 00000000A3AC: D86C7320 4A000005
	ds_read_b32 v75, v5 offset:33824                           // 00000000A3B4: D86C8420 4B000005
	ds_read_b32 v76, v5 offset:29504                           // 00000000A3BC: D86C7340 4C000005
	ds_read_b32 v77, v5 offset:33856                           // 00000000A3C4: D86C8440 4D000005
	ds_read_b32 v78, v5 offset:29536                           // 00000000A3CC: D86C7360 4E000005
	ds_read_b32 v79, v5 offset:33888                           // 00000000A3D4: D86C8460 4F000005
	s_waitcnt lgkmcnt(0)                                       // 00000000A3DC: BF8CC07F
	s_mov_b64 exec, s[20:21]                                   // 00000000A3E0: BEFE0114
	global_atomic_pk_add_bf16 v80, v64, s[8:9]                 // 00000000A3E4: DD488000 00084050
	s_mov_b64 exec, s[36:37]                                   // 00000000A3EC: BEFE0124
	s_mov_b64 exec, s[20:21]                                   // 00000000A3F0: BEFE0114
	global_atomic_pk_add_bf16 v80, v65, s[8:9] offset:256      // 00000000A3F4: DD488100 00084150
	s_mov_b64 exec, s[36:37]                                   // 00000000A3FC: BEFE0124
	s_mov_b64 exec, s[22:23]                                   // 00000000A400: BEFE0116
	global_atomic_pk_add_bf16 v82, v66, s[8:9]                 // 00000000A404: DD488000 00084252
	s_mov_b64 exec, s[36:37]                                   // 00000000A40C: BEFE0124
	s_mov_b64 exec, s[22:23]                                   // 00000000A410: BEFE0116
	global_atomic_pk_add_bf16 v82, v67, s[8:9] offset:256      // 00000000A414: DD488100 00084352
	s_mov_b64 exec, s[36:37]                                   // 00000000A41C: BEFE0124
	s_mov_b64 exec, s[24:25]                                   // 00000000A420: BEFE0118
	global_atomic_pk_add_bf16 v84, v68, s[8:9]                 // 00000000A424: DD488000 00084454
	s_mov_b64 exec, s[36:37]                                   // 00000000A42C: BEFE0124
	s_mov_b64 exec, s[24:25]                                   // 00000000A430: BEFE0118
	global_atomic_pk_add_bf16 v84, v69, s[8:9] offset:256      // 00000000A434: DD488100 00084554
	s_mov_b64 exec, s[36:37]                                   // 00000000A43C: BEFE0124
	s_mov_b64 exec, s[26:27]                                   // 00000000A440: BEFE011A
	global_atomic_pk_add_bf16 v86, v70, s[8:9]                 // 00000000A444: DD488000 00084656
	s_mov_b64 exec, s[36:37]                                   // 00000000A44C: BEFE0124
	s_mov_b64 exec, s[26:27]                                   // 00000000A450: BEFE011A
	global_atomic_pk_add_bf16 v86, v71, s[8:9] offset:256      // 00000000A454: DD488100 00084756
	s_mov_b64 exec, s[36:37]                                   // 00000000A45C: BEFE0124
	s_mov_b64 exec, s[28:29]                                   // 00000000A460: BEFE011C
	global_atomic_pk_add_bf16 v88, v72, s[8:9]                 // 00000000A464: DD488000 00084858
	s_mov_b64 exec, s[36:37]                                   // 00000000A46C: BEFE0124
	s_mov_b64 exec, s[28:29]                                   // 00000000A470: BEFE011C
	global_atomic_pk_add_bf16 v88, v73, s[8:9] offset:256      // 00000000A474: DD488100 00084958
	s_mov_b64 exec, s[36:37]                                   // 00000000A47C: BEFE0124
	s_mov_b64 exec, s[30:31]                                   // 00000000A480: BEFE011E
	global_atomic_pk_add_bf16 v90, v74, s[8:9]                 // 00000000A484: DD488000 00084A5A
	s_mov_b64 exec, s[36:37]                                   // 00000000A48C: BEFE0124
	s_mov_b64 exec, s[30:31]                                   // 00000000A490: BEFE011E
	global_atomic_pk_add_bf16 v90, v75, s[8:9] offset:256      // 00000000A494: DD488100 00084B5A
	s_mov_b64 exec, s[36:37]                                   // 00000000A49C: BEFE0124
	s_mov_b64 exec, s[32:33]                                   // 00000000A4A0: BEFE0120
	global_atomic_pk_add_bf16 v92, v76, s[8:9]                 // 00000000A4A4: DD488000 00084C5C
	s_mov_b64 exec, s[36:37]                                   // 00000000A4AC: BEFE0124
	s_mov_b64 exec, s[32:33]                                   // 00000000A4B0: BEFE0120
	global_atomic_pk_add_bf16 v92, v77, s[8:9] offset:256      // 00000000A4B4: DD488100 00084D5C
	s_mov_b64 exec, s[36:37]                                   // 00000000A4BC: BEFE0124
	s_mov_b64 exec, s[34:35]                                   // 00000000A4C0: BEFE0122
	global_atomic_pk_add_bf16 v94, v78, s[8:9]                 // 00000000A4C4: DD488000 00084E5E
	s_mov_b64 exec, s[36:37]                                   // 00000000A4CC: BEFE0124
	s_mov_b64 exec, s[34:35]                                   // 00000000A4D0: BEFE0122
	global_atomic_pk_add_bf16 v94, v79, s[8:9] offset:256      // 00000000A4D4: DD488100 00084F5E
	s_mov_b64 exec, s[36:37]                                   // 00000000A4DC: BEFE0124
	s_branch label_1E8F                                        // 00000000A4E0: BF8200D6

000000000000a4e4 <label_1DB9>:
	ds_read_b32 v64, v5 offset:20736                           // 00000000A4E4: D86C5100 40000005
	ds_read_b32 v65, v5 offset:25088                           // 00000000A4EC: D86C6200 41000005
	ds_read_b32 v66, v5 offset:20768                           // 00000000A4F4: D86C5120 42000005
	ds_read_b32 v67, v5 offset:25120                           // 00000000A4FC: D86C6220 43000005
	ds_read_b32 v68, v5 offset:20800                           // 00000000A504: D86C5140 44000005
	ds_read_b32 v69, v5 offset:25152                           // 00000000A50C: D86C6240 45000005
	ds_read_b32 v70, v5 offset:20832                           // 00000000A514: D86C5160 46000005
	ds_read_b32 v71, v5 offset:25184                           // 00000000A51C: D86C6260 47000005
	ds_read_b32 v72, v5 offset:29440                           // 00000000A524: D86C7300 48000005
	ds_read_b32 v73, v5 offset:33792                           // 00000000A52C: D86C8400 49000005
	ds_read_b32 v74, v5 offset:29472                           // 00000000A534: D86C7320 4A000005
	ds_read_b32 v75, v5 offset:33824                           // 00000000A53C: D86C8420 4B000005
	ds_read_b32 v76, v5 offset:29504                           // 00000000A544: D86C7340 4C000005
	ds_read_b32 v77, v5 offset:33856                           // 00000000A54C: D86C8440 4D000005
	ds_read_b32 v78, v5 offset:29536                           // 00000000A554: D86C7360 4E000005
	ds_read_b32 v79, v5 offset:33888                           // 00000000A55C: D86C8460 4F000005
	s_waitcnt lgkmcnt(0)                                       // 00000000A564: BF8CC07F
	s_mov_b64 exec, s[20:21]                                   // 00000000A568: BEFE0114
	global_atomic_pk_add_bf16 v80, v64, s[8:9]                 // 00000000A56C: DD488000 00084050
	s_mov_b64 exec, s[36:37]                                   // 00000000A574: BEFE0124
	s_mov_b64 exec, s[20:21]                                   // 00000000A578: BEFE0114
	global_atomic_pk_add_bf16 v80, v65, s[8:9] offset:256      // 00000000A57C: DD488100 00084150
	s_mov_b64 exec, s[36:37]                                   // 00000000A584: BEFE0124
	s_mov_b64 exec, s[22:23]                                   // 00000000A588: BEFE0116
	global_atomic_pk_add_bf16 v82, v66, s[8:9]                 // 00000000A58C: DD488000 00084252
	s_mov_b64 exec, s[36:37]                                   // 00000000A594: BEFE0124
	s_mov_b64 exec, s[22:23]                                   // 00000000A598: BEFE0116
	global_atomic_pk_add_bf16 v82, v67, s[8:9] offset:256      // 00000000A59C: DD488100 00084352
	s_mov_b64 exec, s[36:37]                                   // 00000000A5A4: BEFE0124
	s_mov_b64 exec, s[24:25]                                   // 00000000A5A8: BEFE0118
	global_atomic_pk_add_bf16 v84, v68, s[8:9]                 // 00000000A5AC: DD488000 00084454
	s_mov_b64 exec, s[36:37]                                   // 00000000A5B4: BEFE0124
	s_mov_b64 exec, s[24:25]                                   // 00000000A5B8: BEFE0118
	global_atomic_pk_add_bf16 v84, v69, s[8:9] offset:256      // 00000000A5BC: DD488100 00084554
	s_mov_b64 exec, s[36:37]                                   // 00000000A5C4: BEFE0124
	s_mov_b64 exec, s[26:27]                                   // 00000000A5C8: BEFE011A
	global_atomic_pk_add_bf16 v86, v70, s[8:9]                 // 00000000A5CC: DD488000 00084656
	s_mov_b64 exec, s[36:37]                                   // 00000000A5D4: BEFE0124
	s_mov_b64 exec, s[26:27]                                   // 00000000A5D8: BEFE011A
	global_atomic_pk_add_bf16 v86, v71, s[8:9] offset:256      // 00000000A5DC: DD488100 00084756
	s_mov_b64 exec, s[36:37]                                   // 00000000A5E4: BEFE0124
	s_mov_b64 exec, s[28:29]                                   // 00000000A5E8: BEFE011C
	global_atomic_pk_add_bf16 v88, v72, s[8:9]                 // 00000000A5EC: DD488000 00084858
	s_mov_b64 exec, s[36:37]                                   // 00000000A5F4: BEFE0124
	s_mov_b64 exec, s[28:29]                                   // 00000000A5F8: BEFE011C
	global_atomic_pk_add_bf16 v88, v73, s[8:9] offset:256      // 00000000A5FC: DD488100 00084958
	s_mov_b64 exec, s[36:37]                                   // 00000000A604: BEFE0124
	s_mov_b64 exec, s[30:31]                                   // 00000000A608: BEFE011E
	global_atomic_pk_add_bf16 v90, v74, s[8:9]                 // 00000000A60C: DD488000 00084A5A
	s_mov_b64 exec, s[36:37]                                   // 00000000A614: BEFE0124
	s_mov_b64 exec, s[30:31]                                   // 00000000A618: BEFE011E
	global_atomic_pk_add_bf16 v90, v75, s[8:9] offset:256      // 00000000A61C: DD488100 00084B5A
	s_mov_b64 exec, s[36:37]                                   // 00000000A624: BEFE0124
	s_mov_b64 exec, s[32:33]                                   // 00000000A628: BEFE0120
	global_atomic_pk_add_bf16 v92, v76, s[8:9]                 // 00000000A62C: DD488000 00084C5C
	s_mov_b64 exec, s[36:37]                                   // 00000000A634: BEFE0124
	s_mov_b64 exec, s[32:33]                                   // 00000000A638: BEFE0120
	global_atomic_pk_add_bf16 v92, v77, s[8:9] offset:256      // 00000000A63C: DD488100 00084D5C
	s_mov_b64 exec, s[36:37]                                   // 00000000A644: BEFE0124
	s_mov_b64 exec, s[34:35]                                   // 00000000A648: BEFE0122
	global_atomic_pk_add_bf16 v94, v78, s[8:9]                 // 00000000A64C: DD488000 00084E5E
	s_mov_b64 exec, s[36:37]                                   // 00000000A654: BEFE0124
	s_mov_b64 exec, s[34:35]                                   // 00000000A658: BEFE0122
	global_atomic_pk_add_bf16 v94, v79, s[8:9] offset:256      // 00000000A65C: DD488100 00084F5E
	s_mov_b64 exec, s[36:37]                                   // 00000000A664: BEFE0124
	s_add_u32 s8, s59, s8                                      // 00000000A668: 8008083B
	s_addc_u32 s9, 0, s9                                       // 00000000A66C: 82090980
	ds_write_b64 v4, v[224:225] offset:38144                   // 00000000A670: D89A9500 0000E004
	ds_write_b64 v4, v[226:227] offset:46848                   // 00000000A678: D89AB700 0000E204
	ds_write_b64 v4, v[228:229] offset:40320                   // 00000000A680: D89A9D80 0000E404
	ds_write_b64 v4, v[230:231] offset:49024                   // 00000000A688: D89ABF80 0000E604
	ds_write_b64 v4, v[232:233] offset:42496                   // 00000000A690: D89AA600 0000E804
	ds_write_b64 v4, v[234:235] offset:51200                   // 00000000A698: D89AC800 0000EA04
	ds_write_b64 v4, v[236:237] offset:44672                   // 00000000A6A0: D89AAE80 0000EC04
	ds_write_b64 v4, v[238:239] offset:53376                   // 00000000A6A8: D89AD080 0000EE04
	s_waitcnt lgkmcnt(0)                                       // 00000000A6B0: BF8CC07F
	s_barrier                                                  // 00000000A6B4: BF8A0000
	ds_read_b32 v64, v5 offset:38144                           // 00000000A6B8: D86C9500 40000005
	ds_read_b32 v65, v5 offset:42496                           // 00000000A6C0: D86CA600 41000005
	ds_read_b32 v66, v5 offset:38176                           // 00000000A6C8: D86C9520 42000005
	ds_read_b32 v67, v5 offset:42528                           // 00000000A6D0: D86CA620 43000005
	ds_read_b32 v68, v5 offset:38208                           // 00000000A6D8: D86C9540 44000005
	ds_read_b32 v69, v5 offset:42560                           // 00000000A6E0: D86CA640 45000005
	ds_read_b32 v70, v5 offset:38240                           // 00000000A6E8: D86C9560 46000005
	ds_read_b32 v71, v5 offset:42592                           // 00000000A6F0: D86CA660 47000005
	ds_read_b32 v72, v5 offset:46848                           // 00000000A6F8: D86CB700 48000005
	ds_read_b32 v73, v5 offset:51200                           // 00000000A700: D86CC800 49000005
	ds_read_b32 v74, v5 offset:46880                           // 00000000A708: D86CB720 4A000005
	ds_read_b32 v75, v5 offset:51232                           // 00000000A710: D86CC820 4B000005
	ds_read_b32 v76, v5 offset:46912                           // 00000000A718: D86CB740 4C000005
	ds_read_b32 v77, v5 offset:51264                           // 00000000A720: D86CC840 4D000005
	ds_read_b32 v78, v5 offset:46944                           // 00000000A728: D86CB760 4E000005
	ds_read_b32 v79, v5 offset:51296                           // 00000000A730: D86CC860 4F000005
	s_waitcnt lgkmcnt(0)                                       // 00000000A738: BF8CC07F
	s_mov_b64 exec, s[20:21]                                   // 00000000A73C: BEFE0114
	global_atomic_pk_add_bf16 v80, v64, s[8:9]                 // 00000000A740: DD488000 00084050
	s_mov_b64 exec, s[36:37]                                   // 00000000A748: BEFE0124
	s_mov_b64 exec, s[20:21]                                   // 00000000A74C: BEFE0114
	global_atomic_pk_add_bf16 v80, v65, s[8:9] offset:256      // 00000000A750: DD488100 00084150
	s_mov_b64 exec, s[36:37]                                   // 00000000A758: BEFE0124
	s_mov_b64 exec, s[22:23]                                   // 00000000A75C: BEFE0116
	global_atomic_pk_add_bf16 v82, v66, s[8:9]                 // 00000000A760: DD488000 00084252
	s_mov_b64 exec, s[36:37]                                   // 00000000A768: BEFE0124
	s_mov_b64 exec, s[22:23]                                   // 00000000A76C: BEFE0116
	global_atomic_pk_add_bf16 v82, v67, s[8:9] offset:256      // 00000000A770: DD488100 00084352
	s_mov_b64 exec, s[36:37]                                   // 00000000A778: BEFE0124
	s_mov_b64 exec, s[24:25]                                   // 00000000A77C: BEFE0118
	global_atomic_pk_add_bf16 v84, v68, s[8:9]                 // 00000000A780: DD488000 00084454
	s_mov_b64 exec, s[36:37]                                   // 00000000A788: BEFE0124
	s_mov_b64 exec, s[24:25]                                   // 00000000A78C: BEFE0118
	global_atomic_pk_add_bf16 v84, v69, s[8:9] offset:256      // 00000000A790: DD488100 00084554
	s_mov_b64 exec, s[36:37]                                   // 00000000A798: BEFE0124
	s_mov_b64 exec, s[26:27]                                   // 00000000A79C: BEFE011A
	global_atomic_pk_add_bf16 v86, v70, s[8:9]                 // 00000000A7A0: DD488000 00084656
	s_mov_b64 exec, s[36:37]                                   // 00000000A7A8: BEFE0124
	s_mov_b64 exec, s[26:27]                                   // 00000000A7AC: BEFE011A
	global_atomic_pk_add_bf16 v86, v71, s[8:9] offset:256      // 00000000A7B0: DD488100 00084756
	s_mov_b64 exec, s[36:37]                                   // 00000000A7B8: BEFE0124
	s_mov_b64 exec, s[28:29]                                   // 00000000A7BC: BEFE011C
	global_atomic_pk_add_bf16 v88, v72, s[8:9]                 // 00000000A7C0: DD488000 00084858
	s_mov_b64 exec, s[36:37]                                   // 00000000A7C8: BEFE0124
	s_mov_b64 exec, s[28:29]                                   // 00000000A7CC: BEFE011C
	global_atomic_pk_add_bf16 v88, v73, s[8:9] offset:256      // 00000000A7D0: DD488100 00084958
	s_mov_b64 exec, s[36:37]                                   // 00000000A7D8: BEFE0124
	s_mov_b64 exec, s[30:31]                                   // 00000000A7DC: BEFE011E
	global_atomic_pk_add_bf16 v90, v74, s[8:9]                 // 00000000A7E0: DD488000 00084A5A
	s_mov_b64 exec, s[36:37]                                   // 00000000A7E8: BEFE0124
	s_mov_b64 exec, s[30:31]                                   // 00000000A7EC: BEFE011E
	global_atomic_pk_add_bf16 v90, v75, s[8:9] offset:256      // 00000000A7F0: DD488100 00084B5A
	s_mov_b64 exec, s[36:37]                                   // 00000000A7F8: BEFE0124
	s_mov_b64 exec, s[32:33]                                   // 00000000A7FC: BEFE0120
	global_atomic_pk_add_bf16 v92, v76, s[8:9]                 // 00000000A800: DD488000 00084C5C
	s_mov_b64 exec, s[36:37]                                   // 00000000A808: BEFE0124
	s_mov_b64 exec, s[32:33]                                   // 00000000A80C: BEFE0120
	global_atomic_pk_add_bf16 v92, v77, s[8:9] offset:256      // 00000000A810: DD488100 00084D5C
	s_mov_b64 exec, s[36:37]                                   // 00000000A818: BEFE0124
	s_mov_b64 exec, s[34:35]                                   // 00000000A81C: BEFE0122
	global_atomic_pk_add_bf16 v94, v78, s[8:9]                 // 00000000A820: DD488000 00084E5E
	s_mov_b64 exec, s[36:37]                                   // 00000000A828: BEFE0124
	s_mov_b64 exec, s[34:35]                                   // 00000000A82C: BEFE0122
	global_atomic_pk_add_bf16 v94, v79, s[8:9] offset:256      // 00000000A830: DD488100 00084F5E
	s_mov_b64 exec, s[36:37]                                   // 00000000A838: BEFE0124

000000000000a83c <label_1E8F>:
	s_waitcnt vmcnt(0) expcnt(0) lgkmcnt(0)                    // 00000000A83C: BF8C0000
	s_add_u32 s100, s100, 1                                    // 00000000A840: 80648164
	s_cmp_eq_u32 s96, 0                                        // 00000000A844: BF068060
	s_cbranch_scc0 label_0039                                  // 00000000A848: BF84E1A6

000000000000a84c <label_1E93>:
	s_waitcnt vmcnt(0) expcnt(0) lgkmcnt(0)                    // 00000000A84C: BF8C0000
	s_endpgm                                                   // 00000000A850: BF810000
